;; amdgpu-corpus repo=llvm/llvm-project kind=harvested arch=n/a opt=n/a
// NOTE: Assertions have been autogenerated by utils/update_mc_test_checks.py UTC_ARGS: --unique --sort --version 6
// RUN: llvm-mc -triple=amdgcn -mcpu=gfx900 -show-encoding %s | FileCheck %s

ds_add_f32 v1, v2
// CHECK: ds_add_f32 v1, v2                       ; encoding: [0x00,0x00,0x2a,0xd8,0x01,0x02,0x00,0x00]

ds_add_f32 v1, v2 offset:0
// CHECK: ds_add_f32 v1, v2                       ; encoding: [0x00,0x00,0x2a,0xd8,0x01,0x02,0x00,0x00]

ds_add_f32 v1, v2 offset:4
// CHECK: ds_add_f32 v1, v2 offset:4              ; encoding: [0x04,0x00,0x2a,0xd8,0x01,0x02,0x00,0x00]

ds_add_f32 v1, v2 offset:65535
// CHECK: ds_add_f32 v1, v2 offset:65535          ; encoding: [0xff,0xff,0x2a,0xd8,0x01,0x02,0x00,0x00]

ds_add_f32 v1, v2 offset:65535 gds
// CHECK: ds_add_f32 v1, v2 offset:65535 gds      ; encoding: [0xff,0xff,0x2b,0xd8,0x01,0x02,0x00,0x00]

ds_add_f32 v1, v255 offset:65535
// CHECK: ds_add_f32 v1, v255 offset:65535        ; encoding: [0xff,0xff,0x2a,0xd8,0x01,0xff,0x00,0x00]

ds_add_f32 v255, v2 offset:65535
// CHECK: ds_add_f32 v255, v2 offset:65535        ; encoding: [0xff,0xff,0x2a,0xd8,0xff,0x02,0x00,0x00]

ds_add_rtn_f32 v255, v1, v2 offset:65535
// CHECK: ds_add_rtn_f32 v255, v1, v2 offset:65535 ; encoding: [0xff,0xff,0x6a,0xd8,0x01,0x02,0x00,0xff]

ds_add_rtn_f32 v5, v1, v2
// CHECK: ds_add_rtn_f32 v5, v1, v2               ; encoding: [0x00,0x00,0x6a,0xd8,0x01,0x02,0x00,0x05]

ds_add_rtn_f32 v5, v1, v2 offset:0
// CHECK: ds_add_rtn_f32 v5, v1, v2               ; encoding: [0x00,0x00,0x6a,0xd8,0x01,0x02,0x00,0x05]

ds_add_rtn_f32 v5, v1, v2 offset:4
// CHECK: ds_add_rtn_f32 v5, v1, v2 offset:4      ; encoding: [0x04,0x00,0x6a,0xd8,0x01,0x02,0x00,0x05]

ds_add_rtn_f32 v5, v1, v2 offset:65535
// CHECK: ds_add_rtn_f32 v5, v1, v2 offset:65535  ; encoding: [0xff,0xff,0x6a,0xd8,0x01,0x02,0x00,0x05]

ds_add_rtn_f32 v5, v1, v2 offset:65535 gds
// CHECK: ds_add_rtn_f32 v5, v1, v2 offset:65535 gds ; encoding: [0xff,0xff,0x6b,0xd8,0x01,0x02,0x00,0x05]

ds_add_rtn_f32 v5, v1, v255 offset:65535
// CHECK: ds_add_rtn_f32 v5, v1, v255 offset:65535 ; encoding: [0xff,0xff,0x6a,0xd8,0x01,0xff,0x00,0x05]

ds_add_rtn_f32 v5, v255, v2 offset:65535
// CHECK: ds_add_rtn_f32 v5, v255, v2 offset:65535 ; encoding: [0xff,0xff,0x6a,0xd8,0xff,0x02,0x00,0x05]

ds_add_rtn_u32 v255, v1, v2 offset:65535
// CHECK: ds_add_rtn_u32 v255, v1, v2 offset:65535 ; encoding: [0xff,0xff,0x40,0xd8,0x01,0x02,0x00,0xff]

ds_add_rtn_u32 v5, v1, v2
// CHECK: ds_add_rtn_u32 v5, v1, v2               ; encoding: [0x00,0x00,0x40,0xd8,0x01,0x02,0x00,0x05]

ds_add_rtn_u32 v5, v1, v2 offset:0
// CHECK: ds_add_rtn_u32 v5, v1, v2               ; encoding: [0x00,0x00,0x40,0xd8,0x01,0x02,0x00,0x05]

ds_add_rtn_u32 v5, v1, v2 offset:4
// CHECK: ds_add_rtn_u32 v5, v1, v2 offset:4      ; encoding: [0x04,0x00,0x40,0xd8,0x01,0x02,0x00,0x05]

ds_add_rtn_u32 v5, v1, v2 offset:65535
// CHECK: ds_add_rtn_u32 v5, v1, v2 offset:65535  ; encoding: [0xff,0xff,0x40,0xd8,0x01,0x02,0x00,0x05]

ds_add_rtn_u32 v5, v1, v2 offset:65535 gds
// CHECK: ds_add_rtn_u32 v5, v1, v2 offset:65535 gds ; encoding: [0xff,0xff,0x41,0xd8,0x01,0x02,0x00,0x05]

ds_add_rtn_u32 v5, v1, v255 offset:65535
// CHECK: ds_add_rtn_u32 v5, v1, v255 offset:65535 ; encoding: [0xff,0xff,0x40,0xd8,0x01,0xff,0x00,0x05]

ds_add_rtn_u32 v5, v255, v2 offset:65535
// CHECK: ds_add_rtn_u32 v5, v255, v2 offset:65535 ; encoding: [0xff,0xff,0x40,0xd8,0xff,0x02,0x00,0x05]

ds_add_rtn_u64 v[254:255], v1, v[2:3] offset:65535
// CHECK: ds_add_rtn_u64 v[254:255], v1, v[2:3] offset:65535 ; encoding: [0xff,0xff,0xc0,0xd8,0x01,0x02,0x00,0xfe]

ds_add_rtn_u64 v[5:6], v1, v[254:255] offset:65535
// CHECK: ds_add_rtn_u64 v[5:6], v1, v[254:255] offset:65535 ; encoding: [0xff,0xff,0xc0,0xd8,0x01,0xfe,0x00,0x05]

ds_add_rtn_u64 v[5:6], v1, v[2:3]
// CHECK: ds_add_rtn_u64 v[5:6], v1, v[2:3]       ; encoding: [0x00,0x00,0xc0,0xd8,0x01,0x02,0x00,0x05]

ds_add_rtn_u64 v[5:6], v1, v[2:3] offset:0
// CHECK: ds_add_rtn_u64 v[5:6], v1, v[2:3]       ; encoding: [0x00,0x00,0xc0,0xd8,0x01,0x02,0x00,0x05]

ds_add_rtn_u64 v[5:6], v1, v[2:3] offset:4
// CHECK: ds_add_rtn_u64 v[5:6], v1, v[2:3] offset:4 ; encoding: [0x04,0x00,0xc0,0xd8,0x01,0x02,0x00,0x05]

ds_add_rtn_u64 v[5:6], v1, v[2:3] offset:65535
// CHECK: ds_add_rtn_u64 v[5:6], v1, v[2:3] offset:65535 ; encoding: [0xff,0xff,0xc0,0xd8,0x01,0x02,0x00,0x05]

ds_add_rtn_u64 v[5:6], v1, v[2:3] offset:65535 gds
// CHECK: ds_add_rtn_u64 v[5:6], v1, v[2:3] offset:65535 gds ; encoding: [0xff,0xff,0xc1,0xd8,0x01,0x02,0x00,0x05]

ds_add_rtn_u64 v[5:6], v255, v[2:3] offset:65535
// CHECK: ds_add_rtn_u64 v[5:6], v255, v[2:3] offset:65535 ; encoding: [0xff,0xff,0xc0,0xd8,0xff,0x02,0x00,0x05]

ds_add_src2_f32 v1
// CHECK: ds_add_src2_f32 v1                      ; encoding: [0x00,0x00,0x2a,0xd9,0x01,0x00,0x00,0x00]

ds_add_src2_f32 v1 offset:0
// CHECK: ds_add_src2_f32 v1                      ; encoding: [0x00,0x00,0x2a,0xd9,0x01,0x00,0x00,0x00]

ds_add_src2_f32 v1 offset:4
// CHECK: ds_add_src2_f32 v1 offset:4             ; encoding: [0x04,0x00,0x2a,0xd9,0x01,0x00,0x00,0x00]

ds_add_src2_f32 v1 offset:65535
// CHECK: ds_add_src2_f32 v1 offset:65535         ; encoding: [0xff,0xff,0x2a,0xd9,0x01,0x00,0x00,0x00]

ds_add_src2_f32 v1 offset:65535 gds
// CHECK: ds_add_src2_f32 v1 offset:65535 gds     ; encoding: [0xff,0xff,0x2b,0xd9,0x01,0x00,0x00,0x00]

ds_add_src2_f32 v255 offset:65535
// CHECK: ds_add_src2_f32 v255 offset:65535       ; encoding: [0xff,0xff,0x2a,0xd9,0xff,0x00,0x00,0x00]

ds_add_src2_u32 v1
// CHECK: ds_add_src2_u32 v1                      ; encoding: [0x00,0x00,0x00,0xd9,0x01,0x00,0x00,0x00]

ds_add_src2_u32 v1 offset:0
// CHECK: ds_add_src2_u32 v1                      ; encoding: [0x00,0x00,0x00,0xd9,0x01,0x00,0x00,0x00]

ds_add_src2_u32 v1 offset:4
// CHECK: ds_add_src2_u32 v1 offset:4             ; encoding: [0x04,0x00,0x00,0xd9,0x01,0x00,0x00,0x00]

ds_add_src2_u32 v1 offset:65535
// CHECK: ds_add_src2_u32 v1 offset:65535         ; encoding: [0xff,0xff,0x00,0xd9,0x01,0x00,0x00,0x00]

ds_add_src2_u32 v1 offset:65535 gds
// CHECK: ds_add_src2_u32 v1 offset:65535 gds     ; encoding: [0xff,0xff,0x01,0xd9,0x01,0x00,0x00,0x00]

ds_add_src2_u32 v255 offset:65535
// CHECK: ds_add_src2_u32 v255 offset:65535       ; encoding: [0xff,0xff,0x00,0xd9,0xff,0x00,0x00,0x00]

ds_add_src2_u64 v1
// CHECK: ds_add_src2_u64 v1                      ; encoding: [0x00,0x00,0x80,0xd9,0x01,0x00,0x00,0x00]

ds_add_src2_u64 v1 offset:0
// CHECK: ds_add_src2_u64 v1                      ; encoding: [0x00,0x00,0x80,0xd9,0x01,0x00,0x00,0x00]

ds_add_src2_u64 v1 offset:4
// CHECK: ds_add_src2_u64 v1 offset:4             ; encoding: [0x04,0x00,0x80,0xd9,0x01,0x00,0x00,0x00]

ds_add_src2_u64 v1 offset:65535
// CHECK: ds_add_src2_u64 v1 offset:65535         ; encoding: [0xff,0xff,0x80,0xd9,0x01,0x00,0x00,0x00]

ds_add_src2_u64 v1 offset:65535 gds
// CHECK: ds_add_src2_u64 v1 offset:65535 gds     ; encoding: [0xff,0xff,0x81,0xd9,0x01,0x00,0x00,0x00]

ds_add_src2_u64 v255 offset:65535
// CHECK: ds_add_src2_u64 v255 offset:65535       ; encoding: [0xff,0xff,0x80,0xd9,0xff,0x00,0x00,0x00]

ds_add_u32 v1, v2
// CHECK: ds_add_u32 v1, v2                       ; encoding: [0x00,0x00,0x00,0xd8,0x01,0x02,0x00,0x00]

ds_add_u32 v1, v2 offset:0
// CHECK: ds_add_u32 v1, v2                       ; encoding: [0x00,0x00,0x00,0xd8,0x01,0x02,0x00,0x00]

ds_add_u32 v1, v2 offset:4
// CHECK: ds_add_u32 v1, v2 offset:4              ; encoding: [0x04,0x00,0x00,0xd8,0x01,0x02,0x00,0x00]

ds_add_u32 v1, v2 offset:65535
// CHECK: ds_add_u32 v1, v2 offset:65535          ; encoding: [0xff,0xff,0x00,0xd8,0x01,0x02,0x00,0x00]

ds_add_u32 v1, v2 offset:65535 gds
// CHECK: ds_add_u32 v1, v2 offset:65535 gds      ; encoding: [0xff,0xff,0x01,0xd8,0x01,0x02,0x00,0x00]

ds_add_u32 v1, v255 offset:65535
// CHECK: ds_add_u32 v1, v255 offset:65535        ; encoding: [0xff,0xff,0x00,0xd8,0x01,0xff,0x00,0x00]

ds_add_u32 v255, v2 offset:65535
// CHECK: ds_add_u32 v255, v2 offset:65535        ; encoding: [0xff,0xff,0x00,0xd8,0xff,0x02,0x00,0x00]

ds_add_u64 v1, v[254:255] offset:65535
// CHECK: ds_add_u64 v1, v[254:255] offset:65535  ; encoding: [0xff,0xff,0x80,0xd8,0x01,0xfe,0x00,0x00]

ds_add_u64 v1, v[2:3]
// CHECK: ds_add_u64 v1, v[2:3]                   ; encoding: [0x00,0x00,0x80,0xd8,0x01,0x02,0x00,0x00]

ds_add_u64 v1, v[2:3] offset:0
// CHECK: ds_add_u64 v1, v[2:3]                   ; encoding: [0x00,0x00,0x80,0xd8,0x01,0x02,0x00,0x00]

ds_add_u64 v1, v[2:3] offset:4
// CHECK: ds_add_u64 v1, v[2:3] offset:4          ; encoding: [0x04,0x00,0x80,0xd8,0x01,0x02,0x00,0x00]

ds_add_u64 v1, v[2:3] offset:65535
// CHECK: ds_add_u64 v1, v[2:3] offset:65535      ; encoding: [0xff,0xff,0x80,0xd8,0x01,0x02,0x00,0x00]

ds_add_u64 v1, v[2:3] offset:65535 gds
// CHECK: ds_add_u64 v1, v[2:3] offset:65535 gds  ; encoding: [0xff,0xff,0x81,0xd8,0x01,0x02,0x00,0x00]

ds_add_u64 v255, v[2:3] offset:65535
// CHECK: ds_add_u64 v255, v[2:3] offset:65535    ; encoding: [0xff,0xff,0x80,0xd8,0xff,0x02,0x00,0x00]

ds_and_b32 v1, v2
// CHECK: ds_and_b32 v1, v2                       ; encoding: [0x00,0x00,0x12,0xd8,0x01,0x02,0x00,0x00]

ds_and_b32 v1, v2 offset:0
// CHECK: ds_and_b32 v1, v2                       ; encoding: [0x00,0x00,0x12,0xd8,0x01,0x02,0x00,0x00]

ds_and_b32 v1, v2 offset:4
// CHECK: ds_and_b32 v1, v2 offset:4              ; encoding: [0x04,0x00,0x12,0xd8,0x01,0x02,0x00,0x00]

ds_and_b32 v1, v2 offset:65535
// CHECK: ds_and_b32 v1, v2 offset:65535          ; encoding: [0xff,0xff,0x12,0xd8,0x01,0x02,0x00,0x00]

ds_and_b32 v1, v2 offset:65535 gds
// CHECK: ds_and_b32 v1, v2 offset:65535 gds      ; encoding: [0xff,0xff,0x13,0xd8,0x01,0x02,0x00,0x00]

ds_and_b32 v1, v255 offset:65535
// CHECK: ds_and_b32 v1, v255 offset:65535        ; encoding: [0xff,0xff,0x12,0xd8,0x01,0xff,0x00,0x00]

ds_and_b32 v255, v2 offset:65535
// CHECK: ds_and_b32 v255, v2 offset:65535        ; encoding: [0xff,0xff,0x12,0xd8,0xff,0x02,0x00,0x00]

ds_and_b64 v1, v[254:255] offset:65535
// CHECK: ds_and_b64 v1, v[254:255] offset:65535  ; encoding: [0xff,0xff,0x92,0xd8,0x01,0xfe,0x00,0x00]

ds_and_b64 v1, v[2:3]
// CHECK: ds_and_b64 v1, v[2:3]                   ; encoding: [0x00,0x00,0x92,0xd8,0x01,0x02,0x00,0x00]

ds_and_b64 v1, v[2:3] offset:0
// CHECK: ds_and_b64 v1, v[2:3]                   ; encoding: [0x00,0x00,0x92,0xd8,0x01,0x02,0x00,0x00]

ds_and_b64 v1, v[2:3] offset:4
// CHECK: ds_and_b64 v1, v[2:3] offset:4          ; encoding: [0x04,0x00,0x92,0xd8,0x01,0x02,0x00,0x00]

ds_and_b64 v1, v[2:3] offset:65535
// CHECK: ds_and_b64 v1, v[2:3] offset:65535      ; encoding: [0xff,0xff,0x92,0xd8,0x01,0x02,0x00,0x00]

ds_and_b64 v1, v[2:3] offset:65535 gds
// CHECK: ds_and_b64 v1, v[2:3] offset:65535 gds  ; encoding: [0xff,0xff,0x93,0xd8,0x01,0x02,0x00,0x00]

ds_and_b64 v255, v[2:3] offset:65535
// CHECK: ds_and_b64 v255, v[2:3] offset:65535    ; encoding: [0xff,0xff,0x92,0xd8,0xff,0x02,0x00,0x00]

ds_and_rtn_b32 v255, v1, v2 offset:65535
// CHECK: ds_and_rtn_b32 v255, v1, v2 offset:65535 ; encoding: [0xff,0xff,0x52,0xd8,0x01,0x02,0x00,0xff]

ds_and_rtn_b32 v5, v1, v2
// CHECK: ds_and_rtn_b32 v5, v1, v2               ; encoding: [0x00,0x00,0x52,0xd8,0x01,0x02,0x00,0x05]

ds_and_rtn_b32 v5, v1, v2 offset:0
// CHECK: ds_and_rtn_b32 v5, v1, v2               ; encoding: [0x00,0x00,0x52,0xd8,0x01,0x02,0x00,0x05]

ds_and_rtn_b32 v5, v1, v2 offset:4
// CHECK: ds_and_rtn_b32 v5, v1, v2 offset:4      ; encoding: [0x04,0x00,0x52,0xd8,0x01,0x02,0x00,0x05]

ds_and_rtn_b32 v5, v1, v2 offset:65535
// CHECK: ds_and_rtn_b32 v5, v1, v2 offset:65535  ; encoding: [0xff,0xff,0x52,0xd8,0x01,0x02,0x00,0x05]

ds_and_rtn_b32 v5, v1, v2 offset:65535 gds
// CHECK: ds_and_rtn_b32 v5, v1, v2 offset:65535 gds ; encoding: [0xff,0xff,0x53,0xd8,0x01,0x02,0x00,0x05]

ds_and_rtn_b32 v5, v1, v255 offset:65535
// CHECK: ds_and_rtn_b32 v5, v1, v255 offset:65535 ; encoding: [0xff,0xff,0x52,0xd8,0x01,0xff,0x00,0x05]

ds_and_rtn_b32 v5, v255, v2 offset:65535
// CHECK: ds_and_rtn_b32 v5, v255, v2 offset:65535 ; encoding: [0xff,0xff,0x52,0xd8,0xff,0x02,0x00,0x05]

ds_and_rtn_b64 v[254:255], v1, v[2:3] offset:65535
// CHECK: ds_and_rtn_b64 v[254:255], v1, v[2:3] offset:65535 ; encoding: [0xff,0xff,0xd2,0xd8,0x01,0x02,0x00,0xfe]

ds_and_rtn_b64 v[5:6], v1, v[254:255] offset:65535
// CHECK: ds_and_rtn_b64 v[5:6], v1, v[254:255] offset:65535 ; encoding: [0xff,0xff,0xd2,0xd8,0x01,0xfe,0x00,0x05]

ds_and_rtn_b64 v[5:6], v1, v[2:3]
// CHECK: ds_and_rtn_b64 v[5:6], v1, v[2:3]       ; encoding: [0x00,0x00,0xd2,0xd8,0x01,0x02,0x00,0x05]

ds_and_rtn_b64 v[5:6], v1, v[2:3] offset:0
// CHECK: ds_and_rtn_b64 v[5:6], v1, v[2:3]       ; encoding: [0x00,0x00,0xd2,0xd8,0x01,0x02,0x00,0x05]

ds_and_rtn_b64 v[5:6], v1, v[2:3] offset:4
// CHECK: ds_and_rtn_b64 v[5:6], v1, v[2:3] offset:4 ; encoding: [0x04,0x00,0xd2,0xd8,0x01,0x02,0x00,0x05]

ds_and_rtn_b64 v[5:6], v1, v[2:3] offset:65535
// CHECK: ds_and_rtn_b64 v[5:6], v1, v[2:3] offset:65535 ; encoding: [0xff,0xff,0xd2,0xd8,0x01,0x02,0x00,0x05]

ds_and_rtn_b64 v[5:6], v1, v[2:3] offset:65535 gds
// CHECK: ds_and_rtn_b64 v[5:6], v1, v[2:3] offset:65535 gds ; encoding: [0xff,0xff,0xd3,0xd8,0x01,0x02,0x00,0x05]

ds_and_rtn_b64 v[5:6], v255, v[2:3] offset:65535
// CHECK: ds_and_rtn_b64 v[5:6], v255, v[2:3] offset:65535 ; encoding: [0xff,0xff,0xd2,0xd8,0xff,0x02,0x00,0x05]

ds_and_src2_b32 v1
// CHECK: ds_and_src2_b32 v1                      ; encoding: [0x00,0x00,0x12,0xd9,0x01,0x00,0x00,0x00]

ds_and_src2_b32 v1 offset:0
// CHECK: ds_and_src2_b32 v1                      ; encoding: [0x00,0x00,0x12,0xd9,0x01,0x00,0x00,0x00]

ds_and_src2_b32 v1 offset:4
// CHECK: ds_and_src2_b32 v1 offset:4             ; encoding: [0x04,0x00,0x12,0xd9,0x01,0x00,0x00,0x00]

ds_and_src2_b32 v1 offset:65535
// CHECK: ds_and_src2_b32 v1 offset:65535         ; encoding: [0xff,0xff,0x12,0xd9,0x01,0x00,0x00,0x00]

ds_and_src2_b32 v1 offset:65535 gds
// CHECK: ds_and_src2_b32 v1 offset:65535 gds     ; encoding: [0xff,0xff,0x13,0xd9,0x01,0x00,0x00,0x00]

ds_and_src2_b32 v255 offset:65535
// CHECK: ds_and_src2_b32 v255 offset:65535       ; encoding: [0xff,0xff,0x12,0xd9,0xff,0x00,0x00,0x00]

ds_and_src2_b64 v1
// CHECK: ds_and_src2_b64 v1                      ; encoding: [0x00,0x00,0x92,0xd9,0x01,0x00,0x00,0x00]

ds_and_src2_b64 v1 offset:0
// CHECK: ds_and_src2_b64 v1                      ; encoding: [0x00,0x00,0x92,0xd9,0x01,0x00,0x00,0x00]

ds_and_src2_b64 v1 offset:4
// CHECK: ds_and_src2_b64 v1 offset:4             ; encoding: [0x04,0x00,0x92,0xd9,0x01,0x00,0x00,0x00]

ds_and_src2_b64 v1 offset:65535
// CHECK: ds_and_src2_b64 v1 offset:65535         ; encoding: [0xff,0xff,0x92,0xd9,0x01,0x00,0x00,0x00]

ds_and_src2_b64 v1 offset:65535 gds
// CHECK: ds_and_src2_b64 v1 offset:65535 gds     ; encoding: [0xff,0xff,0x93,0xd9,0x01,0x00,0x00,0x00]

ds_and_src2_b64 v255 offset:65535
// CHECK: ds_and_src2_b64 v255 offset:65535       ; encoding: [0xff,0xff,0x92,0xd9,0xff,0x00,0x00,0x00]

ds_append v255 offset:65535
// CHECK: ds_append v255 offset:65535             ; encoding: [0xff,0xff,0x7c,0xd9,0x00,0x00,0x00,0xff]

ds_append v5
// CHECK: ds_append v5                            ; encoding: [0x00,0x00,0x7c,0xd9,0x00,0x00,0x00,0x05]

ds_append v5 offset:0
// CHECK: ds_append v5                            ; encoding: [0x00,0x00,0x7c,0xd9,0x00,0x00,0x00,0x05]

ds_append v5 offset:4
// CHECK: ds_append v5 offset:4                   ; encoding: [0x04,0x00,0x7c,0xd9,0x00,0x00,0x00,0x05]

ds_append v5 offset:65535
// CHECK: ds_append v5 offset:65535               ; encoding: [0xff,0xff,0x7c,0xd9,0x00,0x00,0x00,0x05]

ds_append v5 offset:65535 gds
// CHECK: ds_append v5 offset:65535 gds           ; encoding: [0xff,0xff,0x7d,0xd9,0x00,0x00,0x00,0x05]

ds_bpermute_b32 v255, v1, v2 offset:65535
// CHECK: ds_bpermute_b32 v255, v1, v2 offset:65535 ; encoding: [0xff,0xff,0x7e,0xd8,0x01,0x02,0x00,0xff]

ds_bpermute_b32 v5, v1, v2
// CHECK: ds_bpermute_b32 v5, v1, v2              ; encoding: [0x00,0x00,0x7e,0xd8,0x01,0x02,0x00,0x05]

ds_bpermute_b32 v5, v1, v2 offset:0
// CHECK: ds_bpermute_b32 v5, v1, v2              ; encoding: [0x00,0x00,0x7e,0xd8,0x01,0x02,0x00,0x05]

ds_bpermute_b32 v5, v1, v2 offset:4
// CHECK: ds_bpermute_b32 v5, v1, v2 offset:4     ; encoding: [0x04,0x00,0x7e,0xd8,0x01,0x02,0x00,0x05]

ds_bpermute_b32 v5, v1, v2 offset:65535
// CHECK: ds_bpermute_b32 v5, v1, v2 offset:65535 ; encoding: [0xff,0xff,0x7e,0xd8,0x01,0x02,0x00,0x05]

ds_bpermute_b32 v5, v1, v255 offset:65535
// CHECK: ds_bpermute_b32 v5, v1, v255 offset:65535 ; encoding: [0xff,0xff,0x7e,0xd8,0x01,0xff,0x00,0x05]
	;; [unrolled: 3-line block ×3, first 2 shown]

ds_cmpst_b32 v1, v2, v255 offset:65535
// CHECK: ds_cmpst_b32 v1, v2, v255 offset:65535  ; encoding: [0xff,0xff,0x20,0xd8,0x01,0x02,0xff,0x00]

ds_cmpst_b32 v1, v2, v3
// CHECK: ds_cmpst_b32 v1, v2, v3                 ; encoding: [0x00,0x00,0x20,0xd8,0x01,0x02,0x03,0x00]

ds_cmpst_b32 v1, v2, v3 offset:0
// CHECK: ds_cmpst_b32 v1, v2, v3                 ; encoding: [0x00,0x00,0x20,0xd8,0x01,0x02,0x03,0x00]

ds_cmpst_b32 v1, v2, v3 offset:4
// CHECK: ds_cmpst_b32 v1, v2, v3 offset:4        ; encoding: [0x04,0x00,0x20,0xd8,0x01,0x02,0x03,0x00]

ds_cmpst_b32 v1, v2, v3 offset:65535
// CHECK: ds_cmpst_b32 v1, v2, v3 offset:65535    ; encoding: [0xff,0xff,0x20,0xd8,0x01,0x02,0x03,0x00]

ds_cmpst_b32 v1, v2, v3 offset:65535 gds
// CHECK: ds_cmpst_b32 v1, v2, v3 offset:65535 gds ; encoding: [0xff,0xff,0x21,0xd8,0x01,0x02,0x03,0x00]

ds_cmpst_b32 v1, v255, v3 offset:65535
// CHECK: ds_cmpst_b32 v1, v255, v3 offset:65535  ; encoding: [0xff,0xff,0x20,0xd8,0x01,0xff,0x03,0x00]

ds_cmpst_b32 v255, v2, v3 offset:65535
// CHECK: ds_cmpst_b32 v255, v2, v3 offset:65535  ; encoding: [0xff,0xff,0x20,0xd8,0xff,0x02,0x03,0x00]

ds_cmpst_b64 v1, v[254:255], v[3:4] offset:65535
// CHECK: ds_cmpst_b64 v1, v[254:255], v[3:4] offset:65535 ; encoding: [0xff,0xff,0xa0,0xd8,0x01,0xfe,0x03,0x00]

ds_cmpst_b64 v1, v[2:3], v[254:255] offset:65535
// CHECK: ds_cmpst_b64 v1, v[2:3], v[254:255] offset:65535 ; encoding: [0xff,0xff,0xa0,0xd8,0x01,0x02,0xfe,0x00]

ds_cmpst_b64 v1, v[2:3], v[3:4]
// CHECK: ds_cmpst_b64 v1, v[2:3], v[3:4]         ; encoding: [0x00,0x00,0xa0,0xd8,0x01,0x02,0x03,0x00]

ds_cmpst_b64 v1, v[2:3], v[3:4] offset:0
// CHECK: ds_cmpst_b64 v1, v[2:3], v[3:4]         ; encoding: [0x00,0x00,0xa0,0xd8,0x01,0x02,0x03,0x00]

ds_cmpst_b64 v1, v[2:3], v[3:4] offset:4
// CHECK: ds_cmpst_b64 v1, v[2:3], v[3:4] offset:4 ; encoding: [0x04,0x00,0xa0,0xd8,0x01,0x02,0x03,0x00]

ds_cmpst_b64 v1, v[2:3], v[3:4] offset:65535
// CHECK: ds_cmpst_b64 v1, v[2:3], v[3:4] offset:65535 ; encoding: [0xff,0xff,0xa0,0xd8,0x01,0x02,0x03,0x00]

ds_cmpst_b64 v1, v[2:3], v[3:4] offset:65535 gds
// CHECK: ds_cmpst_b64 v1, v[2:3], v[3:4] offset:65535 gds ; encoding: [0xff,0xff,0xa1,0xd8,0x01,0x02,0x03,0x00]

ds_cmpst_b64 v255, v[2:3], v[3:4] offset:65535
// CHECK: ds_cmpst_b64 v255, v[2:3], v[3:4] offset:65535 ; encoding: [0xff,0xff,0xa0,0xd8,0xff,0x02,0x03,0x00]

ds_cmpst_f32 v1, v2, v255 offset:65535
// CHECK: ds_cmpst_f32 v1, v2, v255 offset:65535  ; encoding: [0xff,0xff,0x22,0xd8,0x01,0x02,0xff,0x00]

ds_cmpst_f32 v1, v2, v3
// CHECK: ds_cmpst_f32 v1, v2, v3                 ; encoding: [0x00,0x00,0x22,0xd8,0x01,0x02,0x03,0x00]

ds_cmpst_f32 v1, v2, v3 offset:0
// CHECK: ds_cmpst_f32 v1, v2, v3                 ; encoding: [0x00,0x00,0x22,0xd8,0x01,0x02,0x03,0x00]

ds_cmpst_f32 v1, v2, v3 offset:4
// CHECK: ds_cmpst_f32 v1, v2, v3 offset:4        ; encoding: [0x04,0x00,0x22,0xd8,0x01,0x02,0x03,0x00]

ds_cmpst_f32 v1, v2, v3 offset:65535
// CHECK: ds_cmpst_f32 v1, v2, v3 offset:65535    ; encoding: [0xff,0xff,0x22,0xd8,0x01,0x02,0x03,0x00]

ds_cmpst_f32 v1, v2, v3 offset:65535 gds
// CHECK: ds_cmpst_f32 v1, v2, v3 offset:65535 gds ; encoding: [0xff,0xff,0x23,0xd8,0x01,0x02,0x03,0x00]

ds_cmpst_f32 v1, v255, v3 offset:65535
// CHECK: ds_cmpst_f32 v1, v255, v3 offset:65535  ; encoding: [0xff,0xff,0x22,0xd8,0x01,0xff,0x03,0x00]

ds_cmpst_f32 v255, v2, v3 offset:65535
// CHECK: ds_cmpst_f32 v255, v2, v3 offset:65535  ; encoding: [0xff,0xff,0x22,0xd8,0xff,0x02,0x03,0x00]

ds_cmpst_f64 v1, v[254:255], v[3:4] offset:65535
// CHECK: ds_cmpst_f64 v1, v[254:255], v[3:4] offset:65535 ; encoding: [0xff,0xff,0xa2,0xd8,0x01,0xfe,0x03,0x00]

ds_cmpst_f64 v1, v[2:3], v[254:255] offset:65535
// CHECK: ds_cmpst_f64 v1, v[2:3], v[254:255] offset:65535 ; encoding: [0xff,0xff,0xa2,0xd8,0x01,0x02,0xfe,0x00]

ds_cmpst_f64 v1, v[2:3], v[3:4]
// CHECK: ds_cmpst_f64 v1, v[2:3], v[3:4]         ; encoding: [0x00,0x00,0xa2,0xd8,0x01,0x02,0x03,0x00]

ds_cmpst_f64 v1, v[2:3], v[3:4] offset:0
// CHECK: ds_cmpst_f64 v1, v[2:3], v[3:4]         ; encoding: [0x00,0x00,0xa2,0xd8,0x01,0x02,0x03,0x00]

ds_cmpst_f64 v1, v[2:3], v[3:4] offset:4
// CHECK: ds_cmpst_f64 v1, v[2:3], v[3:4] offset:4 ; encoding: [0x04,0x00,0xa2,0xd8,0x01,0x02,0x03,0x00]

ds_cmpst_f64 v1, v[2:3], v[3:4] offset:65535
// CHECK: ds_cmpst_f64 v1, v[2:3], v[3:4] offset:65535 ; encoding: [0xff,0xff,0xa2,0xd8,0x01,0x02,0x03,0x00]

ds_cmpst_f64 v1, v[2:3], v[3:4] offset:65535 gds
// CHECK: ds_cmpst_f64 v1, v[2:3], v[3:4] offset:65535 gds ; encoding: [0xff,0xff,0xa3,0xd8,0x01,0x02,0x03,0x00]

ds_cmpst_f64 v255, v[2:3], v[3:4] offset:65535
// CHECK: ds_cmpst_f64 v255, v[2:3], v[3:4] offset:65535 ; encoding: [0xff,0xff,0xa2,0xd8,0xff,0x02,0x03,0x00]

ds_cmpst_rtn_b32 v255, v1, v2, v3 offset:65535
// CHECK: ds_cmpst_rtn_b32 v255, v1, v2, v3 offset:65535 ; encoding: [0xff,0xff,0x60,0xd8,0x01,0x02,0x03,0xff]

ds_cmpst_rtn_b32 v5, v1, v2, v255 offset:65535
// CHECK: ds_cmpst_rtn_b32 v5, v1, v2, v255 offset:65535 ; encoding: [0xff,0xff,0x60,0xd8,0x01,0x02,0xff,0x05]

ds_cmpst_rtn_b32 v5, v1, v2, v3
// CHECK: ds_cmpst_rtn_b32 v5, v1, v2, v3         ; encoding: [0x00,0x00,0x60,0xd8,0x01,0x02,0x03,0x05]

ds_cmpst_rtn_b32 v5, v1, v2, v3 offset:0
// CHECK: ds_cmpst_rtn_b32 v5, v1, v2, v3         ; encoding: [0x00,0x00,0x60,0xd8,0x01,0x02,0x03,0x05]

ds_cmpst_rtn_b32 v5, v1, v2, v3 offset:4
// CHECK: ds_cmpst_rtn_b32 v5, v1, v2, v3 offset:4 ; encoding: [0x04,0x00,0x60,0xd8,0x01,0x02,0x03,0x05]

ds_cmpst_rtn_b32 v5, v1, v2, v3 offset:65535
// CHECK: ds_cmpst_rtn_b32 v5, v1, v2, v3 offset:65535 ; encoding: [0xff,0xff,0x60,0xd8,0x01,0x02,0x03,0x05]

ds_cmpst_rtn_b32 v5, v1, v2, v3 offset:65535 gds
// CHECK: ds_cmpst_rtn_b32 v5, v1, v2, v3 offset:65535 gds ; encoding: [0xff,0xff,0x61,0xd8,0x01,0x02,0x03,0x05]

ds_cmpst_rtn_b32 v5, v1, v255, v3 offset:65535
// CHECK: ds_cmpst_rtn_b32 v5, v1, v255, v3 offset:65535 ; encoding: [0xff,0xff,0x60,0xd8,0x01,0xff,0x03,0x05]

ds_cmpst_rtn_b32 v5, v255, v2, v3 offset:65535
// CHECK: ds_cmpst_rtn_b32 v5, v255, v2, v3 offset:65535 ; encoding: [0xff,0xff,0x60,0xd8,0xff,0x02,0x03,0x05]

ds_cmpst_rtn_b64 v[254:255], v1, v[2:3], v[3:4] offset:65535
// CHECK: ds_cmpst_rtn_b64 v[254:255], v1, v[2:3], v[3:4] offset:65535 ; encoding: [0xff,0xff,0xe0,0xd8,0x01,0x02,0x03,0xfe]

ds_cmpst_rtn_b64 v[5:6], v1, v[254:255], v[3:4] offset:65535
// CHECK: ds_cmpst_rtn_b64 v[5:6], v1, v[254:255], v[3:4] offset:65535 ; encoding: [0xff,0xff,0xe0,0xd8,0x01,0xfe,0x03,0x05]

ds_cmpst_rtn_b64 v[5:6], v1, v[2:3], v[254:255] offset:65535
// CHECK: ds_cmpst_rtn_b64 v[5:6], v1, v[2:3], v[254:255] offset:65535 ; encoding: [0xff,0xff,0xe0,0xd8,0x01,0x02,0xfe,0x05]

ds_cmpst_rtn_b64 v[5:6], v1, v[2:3], v[3:4]
// CHECK: ds_cmpst_rtn_b64 v[5:6], v1, v[2:3], v[3:4] ; encoding: [0x00,0x00,0xe0,0xd8,0x01,0x02,0x03,0x05]

ds_cmpst_rtn_b64 v[5:6], v1, v[2:3], v[3:4] offset:0
// CHECK: ds_cmpst_rtn_b64 v[5:6], v1, v[2:3], v[3:4] ; encoding: [0x00,0x00,0xe0,0xd8,0x01,0x02,0x03,0x05]

ds_cmpst_rtn_b64 v[5:6], v1, v[2:3], v[3:4] offset:4
// CHECK: ds_cmpst_rtn_b64 v[5:6], v1, v[2:3], v[3:4] offset:4 ; encoding: [0x04,0x00,0xe0,0xd8,0x01,0x02,0x03,0x05]

ds_cmpst_rtn_b64 v[5:6], v1, v[2:3], v[3:4] offset:65535
// CHECK: ds_cmpst_rtn_b64 v[5:6], v1, v[2:3], v[3:4] offset:65535 ; encoding: [0xff,0xff,0xe0,0xd8,0x01,0x02,0x03,0x05]

ds_cmpst_rtn_b64 v[5:6], v1, v[2:3], v[3:4] offset:65535 gds
// CHECK: ds_cmpst_rtn_b64 v[5:6], v1, v[2:3], v[3:4] offset:65535 gds ; encoding: [0xff,0xff,0xe1,0xd8,0x01,0x02,0x03,0x05]

ds_cmpst_rtn_b64 v[5:6], v255, v[2:3], v[3:4] offset:65535
// CHECK: ds_cmpst_rtn_b64 v[5:6], v255, v[2:3], v[3:4] offset:65535 ; encoding: [0xff,0xff,0xe0,0xd8,0xff,0x02,0x03,0x05]

ds_cmpst_rtn_f32 v255, v1, v2, v3 offset:65535
// CHECK: ds_cmpst_rtn_f32 v255, v1, v2, v3 offset:65535 ; encoding: [0xff,0xff,0x62,0xd8,0x01,0x02,0x03,0xff]

ds_cmpst_rtn_f32 v5, v1, v2, v255 offset:65535
// CHECK: ds_cmpst_rtn_f32 v5, v1, v2, v255 offset:65535 ; encoding: [0xff,0xff,0x62,0xd8,0x01,0x02,0xff,0x05]

ds_cmpst_rtn_f32 v5, v1, v2, v3
// CHECK: ds_cmpst_rtn_f32 v5, v1, v2, v3         ; encoding: [0x00,0x00,0x62,0xd8,0x01,0x02,0x03,0x05]

ds_cmpst_rtn_f32 v5, v1, v2, v3 offset:0
// CHECK: ds_cmpst_rtn_f32 v5, v1, v2, v3         ; encoding: [0x00,0x00,0x62,0xd8,0x01,0x02,0x03,0x05]

ds_cmpst_rtn_f32 v5, v1, v2, v3 offset:4
// CHECK: ds_cmpst_rtn_f32 v5, v1, v2, v3 offset:4 ; encoding: [0x04,0x00,0x62,0xd8,0x01,0x02,0x03,0x05]

ds_cmpst_rtn_f32 v5, v1, v2, v3 offset:65535
// CHECK: ds_cmpst_rtn_f32 v5, v1, v2, v3 offset:65535 ; encoding: [0xff,0xff,0x62,0xd8,0x01,0x02,0x03,0x05]

ds_cmpst_rtn_f32 v5, v1, v2, v3 offset:65535 gds
// CHECK: ds_cmpst_rtn_f32 v5, v1, v2, v3 offset:65535 gds ; encoding: [0xff,0xff,0x63,0xd8,0x01,0x02,0x03,0x05]

ds_cmpst_rtn_f32 v5, v1, v255, v3 offset:65535
// CHECK: ds_cmpst_rtn_f32 v5, v1, v255, v3 offset:65535 ; encoding: [0xff,0xff,0x62,0xd8,0x01,0xff,0x03,0x05]

ds_cmpst_rtn_f32 v5, v255, v2, v3 offset:65535
// CHECK: ds_cmpst_rtn_f32 v5, v255, v2, v3 offset:65535 ; encoding: [0xff,0xff,0x62,0xd8,0xff,0x02,0x03,0x05]

ds_cmpst_rtn_f64 v[254:255], v1, v[2:3], v[3:4] offset:65535
// CHECK: ds_cmpst_rtn_f64 v[254:255], v1, v[2:3], v[3:4] offset:65535 ; encoding: [0xff,0xff,0xe2,0xd8,0x01,0x02,0x03,0xfe]

ds_cmpst_rtn_f64 v[5:6], v1, v[254:255], v[3:4] offset:65535
// CHECK: ds_cmpst_rtn_f64 v[5:6], v1, v[254:255], v[3:4] offset:65535 ; encoding: [0xff,0xff,0xe2,0xd8,0x01,0xfe,0x03,0x05]
	;; [unrolled: 3-line block ×3, first 2 shown]

ds_cmpst_rtn_f64 v[5:6], v1, v[2:3], v[3:4]
// CHECK: ds_cmpst_rtn_f64 v[5:6], v1, v[2:3], v[3:4] ; encoding: [0x00,0x00,0xe2,0xd8,0x01,0x02,0x03,0x05]

ds_cmpst_rtn_f64 v[5:6], v1, v[2:3], v[3:4] offset:0
// CHECK: ds_cmpst_rtn_f64 v[5:6], v1, v[2:3], v[3:4] ; encoding: [0x00,0x00,0xe2,0xd8,0x01,0x02,0x03,0x05]

ds_cmpst_rtn_f64 v[5:6], v1, v[2:3], v[3:4] offset:4
// CHECK: ds_cmpst_rtn_f64 v[5:6], v1, v[2:3], v[3:4] offset:4 ; encoding: [0x04,0x00,0xe2,0xd8,0x01,0x02,0x03,0x05]

ds_cmpst_rtn_f64 v[5:6], v1, v[2:3], v[3:4] offset:65535
// CHECK: ds_cmpst_rtn_f64 v[5:6], v1, v[2:3], v[3:4] offset:65535 ; encoding: [0xff,0xff,0xe2,0xd8,0x01,0x02,0x03,0x05]

ds_cmpst_rtn_f64 v[5:6], v1, v[2:3], v[3:4] offset:65535 gds
// CHECK: ds_cmpst_rtn_f64 v[5:6], v1, v[2:3], v[3:4] offset:65535 gds ; encoding: [0xff,0xff,0xe3,0xd8,0x01,0x02,0x03,0x05]

ds_cmpst_rtn_f64 v[5:6], v255, v[2:3], v[3:4] offset:65535
// CHECK: ds_cmpst_rtn_f64 v[5:6], v255, v[2:3], v[3:4] offset:65535 ; encoding: [0xff,0xff,0xe2,0xd8,0xff,0x02,0x03,0x05]

ds_condxchg32_rtn_b64 v[254:255], v1, v[2:3] offset:65535
// CHECK: ds_condxchg32_rtn_b64 v[254:255], v1, v[2:3] offset:65535 ; encoding: [0xff,0xff,0xfc,0xd8,0x01,0x02,0x00,0xfe]

ds_condxchg32_rtn_b64 v[5:6], v1, v[254:255] offset:65535
// CHECK: ds_condxchg32_rtn_b64 v[5:6], v1, v[254:255] offset:65535 ; encoding: [0xff,0xff,0xfc,0xd8,0x01,0xfe,0x00,0x05]

ds_condxchg32_rtn_b64 v[5:6], v1, v[2:3]
// CHECK: ds_condxchg32_rtn_b64 v[5:6], v1, v[2:3] ; encoding: [0x00,0x00,0xfc,0xd8,0x01,0x02,0x00,0x05]

ds_condxchg32_rtn_b64 v[5:6], v1, v[2:3] offset:0
// CHECK: ds_condxchg32_rtn_b64 v[5:6], v1, v[2:3] ; encoding: [0x00,0x00,0xfc,0xd8,0x01,0x02,0x00,0x05]

ds_condxchg32_rtn_b64 v[5:6], v1, v[2:3] offset:4
// CHECK: ds_condxchg32_rtn_b64 v[5:6], v1, v[2:3] offset:4 ; encoding: [0x04,0x00,0xfc,0xd8,0x01,0x02,0x00,0x05]

ds_condxchg32_rtn_b64 v[5:6], v1, v[2:3] offset:65535
// CHECK: ds_condxchg32_rtn_b64 v[5:6], v1, v[2:3] offset:65535 ; encoding: [0xff,0xff,0xfc,0xd8,0x01,0x02,0x00,0x05]

ds_condxchg32_rtn_b64 v[5:6], v1, v[2:3] offset:65535 gds
// CHECK: ds_condxchg32_rtn_b64 v[5:6], v1, v[2:3] offset:65535 gds ; encoding: [0xff,0xff,0xfd,0xd8,0x01,0x02,0x00,0x05]

ds_condxchg32_rtn_b64 v[5:6], v255, v[2:3] offset:65535
// CHECK: ds_condxchg32_rtn_b64 v[5:6], v255, v[2:3] offset:65535 ; encoding: [0xff,0xff,0xfc,0xd8,0xff,0x02,0x00,0x05]

ds_consume v255 offset:65535
// CHECK: ds_consume v255 offset:65535            ; encoding: [0xff,0xff,0x7a,0xd9,0x00,0x00,0x00,0xff]

ds_consume v5
// CHECK: ds_consume v5                           ; encoding: [0x00,0x00,0x7a,0xd9,0x00,0x00,0x00,0x05]

ds_consume v5 offset:0
// CHECK: ds_consume v5                           ; encoding: [0x00,0x00,0x7a,0xd9,0x00,0x00,0x00,0x05]

ds_consume v5 offset:4
// CHECK: ds_consume v5 offset:4                  ; encoding: [0x04,0x00,0x7a,0xd9,0x00,0x00,0x00,0x05]

ds_consume v5 offset:65535
// CHECK: ds_consume v5 offset:65535              ; encoding: [0xff,0xff,0x7a,0xd9,0x00,0x00,0x00,0x05]

ds_consume v5 offset:65535 gds
// CHECK: ds_consume v5 offset:65535 gds          ; encoding: [0xff,0xff,0x7b,0xd9,0x00,0x00,0x00,0x05]

ds_dec_rtn_u32 v255, v1, v2 offset:65535
// CHECK: ds_dec_rtn_u32 v255, v1, v2 offset:65535 ; encoding: [0xff,0xff,0x48,0xd8,0x01,0x02,0x00,0xff]

ds_dec_rtn_u32 v5, v1, v2
// CHECK: ds_dec_rtn_u32 v5, v1, v2               ; encoding: [0x00,0x00,0x48,0xd8,0x01,0x02,0x00,0x05]

ds_dec_rtn_u32 v5, v1, v2 offset:0
// CHECK: ds_dec_rtn_u32 v5, v1, v2               ; encoding: [0x00,0x00,0x48,0xd8,0x01,0x02,0x00,0x05]

ds_dec_rtn_u32 v5, v1, v2 offset:4
// CHECK: ds_dec_rtn_u32 v5, v1, v2 offset:4      ; encoding: [0x04,0x00,0x48,0xd8,0x01,0x02,0x00,0x05]

ds_dec_rtn_u32 v5, v1, v2 offset:65535
// CHECK: ds_dec_rtn_u32 v5, v1, v2 offset:65535  ; encoding: [0xff,0xff,0x48,0xd8,0x01,0x02,0x00,0x05]

ds_dec_rtn_u32 v5, v1, v2 offset:65535 gds
// CHECK: ds_dec_rtn_u32 v5, v1, v2 offset:65535 gds ; encoding: [0xff,0xff,0x49,0xd8,0x01,0x02,0x00,0x05]

ds_dec_rtn_u32 v5, v1, v255 offset:65535
// CHECK: ds_dec_rtn_u32 v5, v1, v255 offset:65535 ; encoding: [0xff,0xff,0x48,0xd8,0x01,0xff,0x00,0x05]

ds_dec_rtn_u32 v5, v255, v2 offset:65535
// CHECK: ds_dec_rtn_u32 v5, v255, v2 offset:65535 ; encoding: [0xff,0xff,0x48,0xd8,0xff,0x02,0x00,0x05]

ds_dec_rtn_u64 v[254:255], v1, v[2:3] offset:65535
// CHECK: ds_dec_rtn_u64 v[254:255], v1, v[2:3] offset:65535 ; encoding: [0xff,0xff,0xc8,0xd8,0x01,0x02,0x00,0xfe]

ds_dec_rtn_u64 v[5:6], v1, v[254:255] offset:65535
// CHECK: ds_dec_rtn_u64 v[5:6], v1, v[254:255] offset:65535 ; encoding: [0xff,0xff,0xc8,0xd8,0x01,0xfe,0x00,0x05]

ds_dec_rtn_u64 v[5:6], v1, v[2:3]
// CHECK: ds_dec_rtn_u64 v[5:6], v1, v[2:3]       ; encoding: [0x00,0x00,0xc8,0xd8,0x01,0x02,0x00,0x05]

ds_dec_rtn_u64 v[5:6], v1, v[2:3] offset:0
// CHECK: ds_dec_rtn_u64 v[5:6], v1, v[2:3]       ; encoding: [0x00,0x00,0xc8,0xd8,0x01,0x02,0x00,0x05]

ds_dec_rtn_u64 v[5:6], v1, v[2:3] offset:4
// CHECK: ds_dec_rtn_u64 v[5:6], v1, v[2:3] offset:4 ; encoding: [0x04,0x00,0xc8,0xd8,0x01,0x02,0x00,0x05]

ds_dec_rtn_u64 v[5:6], v1, v[2:3] offset:65535
// CHECK: ds_dec_rtn_u64 v[5:6], v1, v[2:3] offset:65535 ; encoding: [0xff,0xff,0xc8,0xd8,0x01,0x02,0x00,0x05]

ds_dec_rtn_u64 v[5:6], v1, v[2:3] offset:65535 gds
// CHECK: ds_dec_rtn_u64 v[5:6], v1, v[2:3] offset:65535 gds ; encoding: [0xff,0xff,0xc9,0xd8,0x01,0x02,0x00,0x05]

ds_dec_rtn_u64 v[5:6], v255, v[2:3] offset:65535
// CHECK: ds_dec_rtn_u64 v[5:6], v255, v[2:3] offset:65535 ; encoding: [0xff,0xff,0xc8,0xd8,0xff,0x02,0x00,0x05]

ds_dec_src2_u32 v1
// CHECK: ds_dec_src2_u32 v1                      ; encoding: [0x00,0x00,0x08,0xd9,0x01,0x00,0x00,0x00]

ds_dec_src2_u32 v1 offset:0
// CHECK: ds_dec_src2_u32 v1                      ; encoding: [0x00,0x00,0x08,0xd9,0x01,0x00,0x00,0x00]

ds_dec_src2_u32 v1 offset:4
// CHECK: ds_dec_src2_u32 v1 offset:4             ; encoding: [0x04,0x00,0x08,0xd9,0x01,0x00,0x00,0x00]

ds_dec_src2_u32 v1 offset:65535
// CHECK: ds_dec_src2_u32 v1 offset:65535         ; encoding: [0xff,0xff,0x08,0xd9,0x01,0x00,0x00,0x00]

ds_dec_src2_u32 v1 offset:65535 gds
// CHECK: ds_dec_src2_u32 v1 offset:65535 gds     ; encoding: [0xff,0xff,0x09,0xd9,0x01,0x00,0x00,0x00]

ds_dec_src2_u32 v255 offset:65535
// CHECK: ds_dec_src2_u32 v255 offset:65535       ; encoding: [0xff,0xff,0x08,0xd9,0xff,0x00,0x00,0x00]

ds_dec_src2_u64 v1
// CHECK: ds_dec_src2_u64 v1                      ; encoding: [0x00,0x00,0x88,0xd9,0x01,0x00,0x00,0x00]

ds_dec_src2_u64 v1 offset:0
// CHECK: ds_dec_src2_u64 v1                      ; encoding: [0x00,0x00,0x88,0xd9,0x01,0x00,0x00,0x00]

ds_dec_src2_u64 v1 offset:4
// CHECK: ds_dec_src2_u64 v1 offset:4             ; encoding: [0x04,0x00,0x88,0xd9,0x01,0x00,0x00,0x00]

ds_dec_src2_u64 v1 offset:65535
// CHECK: ds_dec_src2_u64 v1 offset:65535         ; encoding: [0xff,0xff,0x88,0xd9,0x01,0x00,0x00,0x00]

ds_dec_src2_u64 v1 offset:65535 gds
// CHECK: ds_dec_src2_u64 v1 offset:65535 gds     ; encoding: [0xff,0xff,0x89,0xd9,0x01,0x00,0x00,0x00]

ds_dec_src2_u64 v255 offset:65535
// CHECK: ds_dec_src2_u64 v255 offset:65535       ; encoding: [0xff,0xff,0x88,0xd9,0xff,0x00,0x00,0x00]

ds_dec_u32 v1, v2
// CHECK: ds_dec_u32 v1, v2                       ; encoding: [0x00,0x00,0x08,0xd8,0x01,0x02,0x00,0x00]

ds_dec_u32 v1, v2 offset:0
// CHECK: ds_dec_u32 v1, v2                       ; encoding: [0x00,0x00,0x08,0xd8,0x01,0x02,0x00,0x00]

ds_dec_u32 v1, v2 offset:4
// CHECK: ds_dec_u32 v1, v2 offset:4              ; encoding: [0x04,0x00,0x08,0xd8,0x01,0x02,0x00,0x00]

ds_dec_u32 v1, v2 offset:65535
// CHECK: ds_dec_u32 v1, v2 offset:65535          ; encoding: [0xff,0xff,0x08,0xd8,0x01,0x02,0x00,0x00]

ds_dec_u32 v1, v2 offset:65535 gds
// CHECK: ds_dec_u32 v1, v2 offset:65535 gds      ; encoding: [0xff,0xff,0x09,0xd8,0x01,0x02,0x00,0x00]

ds_dec_u32 v1, v255 offset:65535
// CHECK: ds_dec_u32 v1, v255 offset:65535        ; encoding: [0xff,0xff,0x08,0xd8,0x01,0xff,0x00,0x00]

ds_dec_u32 v255, v2 offset:65535
// CHECK: ds_dec_u32 v255, v2 offset:65535        ; encoding: [0xff,0xff,0x08,0xd8,0xff,0x02,0x00,0x00]

ds_dec_u64 v1, v[254:255] offset:65535
// CHECK: ds_dec_u64 v1, v[254:255] offset:65535  ; encoding: [0xff,0xff,0x88,0xd8,0x01,0xfe,0x00,0x00]

ds_dec_u64 v1, v[2:3]
// CHECK: ds_dec_u64 v1, v[2:3]                   ; encoding: [0x00,0x00,0x88,0xd8,0x01,0x02,0x00,0x00]

ds_dec_u64 v1, v[2:3] offset:0
// CHECK: ds_dec_u64 v1, v[2:3]                   ; encoding: [0x00,0x00,0x88,0xd8,0x01,0x02,0x00,0x00]

ds_dec_u64 v1, v[2:3] offset:4
// CHECK: ds_dec_u64 v1, v[2:3] offset:4          ; encoding: [0x04,0x00,0x88,0xd8,0x01,0x02,0x00,0x00]

ds_dec_u64 v1, v[2:3] offset:65535
// CHECK: ds_dec_u64 v1, v[2:3] offset:65535      ; encoding: [0xff,0xff,0x88,0xd8,0x01,0x02,0x00,0x00]

ds_dec_u64 v1, v[2:3] offset:65535 gds
// CHECK: ds_dec_u64 v1, v[2:3] offset:65535 gds  ; encoding: [0xff,0xff,0x89,0xd8,0x01,0x02,0x00,0x00]

ds_dec_u64 v255, v[2:3] offset:65535
// CHECK: ds_dec_u64 v255, v[2:3] offset:65535    ; encoding: [0xff,0xff,0x88,0xd8,0xff,0x02,0x00,0x00]

ds_gws_barrier v1 gds
// CHECK: ds_gws_barrier v1 gds                   ; encoding: [0x00,0x00,0x3b,0xd9,0x01,0x00,0x00,0x00]

ds_gws_barrier v1 offset:0 gds
// CHECK: ds_gws_barrier v1 gds                   ; encoding: [0x00,0x00,0x3b,0xd9,0x01,0x00,0x00,0x00]

ds_gws_barrier v1 offset:4 gds
// CHECK: ds_gws_barrier v1 offset:4 gds          ; encoding: [0x04,0x00,0x3b,0xd9,0x01,0x00,0x00,0x00]

ds_gws_barrier v1 offset:65535 gds
// CHECK: ds_gws_barrier v1 offset:65535 gds      ; encoding: [0xff,0xff,0x3b,0xd9,0x01,0x00,0x00,0x00]

ds_gws_barrier v255 offset:65535 gds
// CHECK: ds_gws_barrier v255 offset:65535 gds    ; encoding: [0xff,0xff,0x3b,0xd9,0xff,0x00,0x00,0x00]

ds_gws_init v1 gds
// CHECK: ds_gws_init v1 gds                      ; encoding: [0x00,0x00,0x33,0xd9,0x01,0x00,0x00,0x00]

ds_gws_init v1 offset:0 gds
// CHECK: ds_gws_init v1 gds                      ; encoding: [0x00,0x00,0x33,0xd9,0x01,0x00,0x00,0x00]

ds_gws_init v1 offset:4 gds
// CHECK: ds_gws_init v1 offset:4 gds             ; encoding: [0x04,0x00,0x33,0xd9,0x01,0x00,0x00,0x00]

ds_gws_init v1 offset:65535 gds
// CHECK: ds_gws_init v1 offset:65535 gds         ; encoding: [0xff,0xff,0x33,0xd9,0x01,0x00,0x00,0x00]

ds_gws_init v255 offset:65535 gds
// CHECK: ds_gws_init v255 offset:65535 gds       ; encoding: [0xff,0xff,0x33,0xd9,0xff,0x00,0x00,0x00]

ds_gws_sema_br v1 gds
// CHECK: ds_gws_sema_br v1 gds                   ; encoding: [0x00,0x00,0x37,0xd9,0x01,0x00,0x00,0x00]

ds_gws_sema_br v1 offset:0 gds
// CHECK: ds_gws_sema_br v1 gds                   ; encoding: [0x00,0x00,0x37,0xd9,0x01,0x00,0x00,0x00]

ds_gws_sema_br v1 offset:4 gds
// CHECK: ds_gws_sema_br v1 offset:4 gds          ; encoding: [0x04,0x00,0x37,0xd9,0x01,0x00,0x00,0x00]

ds_gws_sema_br v1 offset:65535 gds
// CHECK: ds_gws_sema_br v1 offset:65535 gds      ; encoding: [0xff,0xff,0x37,0xd9,0x01,0x00,0x00,0x00]

ds_gws_sema_br v255 offset:65535 gds
// CHECK: ds_gws_sema_br v255 offset:65535 gds    ; encoding: [0xff,0xff,0x37,0xd9,0xff,0x00,0x00,0x00]

ds_gws_sema_p gds
// CHECK: ds_gws_sema_p gds                       ; encoding: [0x00,0x00,0x39,0xd9,0x00,0x00,0x00,0x00]

ds_gws_sema_p offset:0 gds
// CHECK: ds_gws_sema_p gds                       ; encoding: [0x00,0x00,0x39,0xd9,0x00,0x00,0x00,0x00]

ds_gws_sema_p offset:4 gds
// CHECK: ds_gws_sema_p offset:4 gds              ; encoding: [0x04,0x00,0x39,0xd9,0x00,0x00,0x00,0x00]

ds_gws_sema_p offset:65535 gds
// CHECK: ds_gws_sema_p offset:65535 gds          ; encoding: [0xff,0xff,0x39,0xd9,0x00,0x00,0x00,0x00]

ds_gws_sema_release_all gds
// CHECK: ds_gws_sema_release_all gds             ; encoding: [0x00,0x00,0x31,0xd9,0x00,0x00,0x00,0x00]

ds_gws_sema_release_all offset:0 gds
// CHECK: ds_gws_sema_release_all gds             ; encoding: [0x00,0x00,0x31,0xd9,0x00,0x00,0x00,0x00]

ds_gws_sema_release_all offset:4 gds
// CHECK: ds_gws_sema_release_all offset:4 gds    ; encoding: [0x04,0x00,0x31,0xd9,0x00,0x00,0x00,0x00]

ds_gws_sema_release_all offset:65535 gds
// CHECK: ds_gws_sema_release_all offset:65535 gds ; encoding: [0xff,0xff,0x31,0xd9,0x00,0x00,0x00,0x00]

ds_gws_sema_v gds
// CHECK: ds_gws_sema_v gds                       ; encoding: [0x00,0x00,0x35,0xd9,0x00,0x00,0x00,0x00]

ds_gws_sema_v offset:0 gds
// CHECK: ds_gws_sema_v gds                       ; encoding: [0x00,0x00,0x35,0xd9,0x00,0x00,0x00,0x00]

ds_gws_sema_v offset:4 gds
// CHECK: ds_gws_sema_v offset:4 gds              ; encoding: [0x04,0x00,0x35,0xd9,0x00,0x00,0x00,0x00]

ds_gws_sema_v offset:65535 gds
// CHECK: ds_gws_sema_v offset:65535 gds          ; encoding: [0xff,0xff,0x35,0xd9,0x00,0x00,0x00,0x00]

ds_inc_rtn_u32 v255, v1, v2 offset:65535
// CHECK: ds_inc_rtn_u32 v255, v1, v2 offset:65535 ; encoding: [0xff,0xff,0x46,0xd8,0x01,0x02,0x00,0xff]

ds_inc_rtn_u32 v5, v1, v2
// CHECK: ds_inc_rtn_u32 v5, v1, v2               ; encoding: [0x00,0x00,0x46,0xd8,0x01,0x02,0x00,0x05]

ds_inc_rtn_u32 v5, v1, v2 offset:0
// CHECK: ds_inc_rtn_u32 v5, v1, v2               ; encoding: [0x00,0x00,0x46,0xd8,0x01,0x02,0x00,0x05]

ds_inc_rtn_u32 v5, v1, v2 offset:4
// CHECK: ds_inc_rtn_u32 v5, v1, v2 offset:4      ; encoding: [0x04,0x00,0x46,0xd8,0x01,0x02,0x00,0x05]

ds_inc_rtn_u32 v5, v1, v2 offset:65535
// CHECK: ds_inc_rtn_u32 v5, v1, v2 offset:65535  ; encoding: [0xff,0xff,0x46,0xd8,0x01,0x02,0x00,0x05]

ds_inc_rtn_u32 v5, v1, v2 offset:65535 gds
// CHECK: ds_inc_rtn_u32 v5, v1, v2 offset:65535 gds ; encoding: [0xff,0xff,0x47,0xd8,0x01,0x02,0x00,0x05]

ds_inc_rtn_u32 v5, v1, v255 offset:65535
// CHECK: ds_inc_rtn_u32 v5, v1, v255 offset:65535 ; encoding: [0xff,0xff,0x46,0xd8,0x01,0xff,0x00,0x05]

ds_inc_rtn_u32 v5, v255, v2 offset:65535
// CHECK: ds_inc_rtn_u32 v5, v255, v2 offset:65535 ; encoding: [0xff,0xff,0x46,0xd8,0xff,0x02,0x00,0x05]

ds_inc_rtn_u64 v[254:255], v1, v[2:3] offset:65535
// CHECK: ds_inc_rtn_u64 v[254:255], v1, v[2:3] offset:65535 ; encoding: [0xff,0xff,0xc6,0xd8,0x01,0x02,0x00,0xfe]

ds_inc_rtn_u64 v[5:6], v1, v[254:255] offset:65535
// CHECK: ds_inc_rtn_u64 v[5:6], v1, v[254:255] offset:65535 ; encoding: [0xff,0xff,0xc6,0xd8,0x01,0xfe,0x00,0x05]

ds_inc_rtn_u64 v[5:6], v1, v[2:3]
// CHECK: ds_inc_rtn_u64 v[5:6], v1, v[2:3]       ; encoding: [0x00,0x00,0xc6,0xd8,0x01,0x02,0x00,0x05]

ds_inc_rtn_u64 v[5:6], v1, v[2:3] offset:0
// CHECK: ds_inc_rtn_u64 v[5:6], v1, v[2:3]       ; encoding: [0x00,0x00,0xc6,0xd8,0x01,0x02,0x00,0x05]

ds_inc_rtn_u64 v[5:6], v1, v[2:3] offset:4
// CHECK: ds_inc_rtn_u64 v[5:6], v1, v[2:3] offset:4 ; encoding: [0x04,0x00,0xc6,0xd8,0x01,0x02,0x00,0x05]

ds_inc_rtn_u64 v[5:6], v1, v[2:3] offset:65535
// CHECK: ds_inc_rtn_u64 v[5:6], v1, v[2:3] offset:65535 ; encoding: [0xff,0xff,0xc6,0xd8,0x01,0x02,0x00,0x05]

ds_inc_rtn_u64 v[5:6], v1, v[2:3] offset:65535 gds
// CHECK: ds_inc_rtn_u64 v[5:6], v1, v[2:3] offset:65535 gds ; encoding: [0xff,0xff,0xc7,0xd8,0x01,0x02,0x00,0x05]

ds_inc_rtn_u64 v[5:6], v255, v[2:3] offset:65535
// CHECK: ds_inc_rtn_u64 v[5:6], v255, v[2:3] offset:65535 ; encoding: [0xff,0xff,0xc6,0xd8,0xff,0x02,0x00,0x05]

ds_inc_src2_u32 v1
// CHECK: ds_inc_src2_u32 v1                      ; encoding: [0x00,0x00,0x06,0xd9,0x01,0x00,0x00,0x00]

ds_inc_src2_u32 v1 offset:0
// CHECK: ds_inc_src2_u32 v1                      ; encoding: [0x00,0x00,0x06,0xd9,0x01,0x00,0x00,0x00]

ds_inc_src2_u32 v1 offset:4
// CHECK: ds_inc_src2_u32 v1 offset:4             ; encoding: [0x04,0x00,0x06,0xd9,0x01,0x00,0x00,0x00]

ds_inc_src2_u32 v1 offset:65535
// CHECK: ds_inc_src2_u32 v1 offset:65535         ; encoding: [0xff,0xff,0x06,0xd9,0x01,0x00,0x00,0x00]

ds_inc_src2_u32 v1 offset:65535 gds
// CHECK: ds_inc_src2_u32 v1 offset:65535 gds     ; encoding: [0xff,0xff,0x07,0xd9,0x01,0x00,0x00,0x00]

ds_inc_src2_u32 v255 offset:65535
// CHECK: ds_inc_src2_u32 v255 offset:65535       ; encoding: [0xff,0xff,0x06,0xd9,0xff,0x00,0x00,0x00]

ds_inc_src2_u64 v1
// CHECK: ds_inc_src2_u64 v1                      ; encoding: [0x00,0x00,0x86,0xd9,0x01,0x00,0x00,0x00]

ds_inc_src2_u64 v1 offset:0
// CHECK: ds_inc_src2_u64 v1                      ; encoding: [0x00,0x00,0x86,0xd9,0x01,0x00,0x00,0x00]

ds_inc_src2_u64 v1 offset:4
// CHECK: ds_inc_src2_u64 v1 offset:4             ; encoding: [0x04,0x00,0x86,0xd9,0x01,0x00,0x00,0x00]

ds_inc_src2_u64 v1 offset:65535
// CHECK: ds_inc_src2_u64 v1 offset:65535         ; encoding: [0xff,0xff,0x86,0xd9,0x01,0x00,0x00,0x00]

ds_inc_src2_u64 v1 offset:65535 gds
// CHECK: ds_inc_src2_u64 v1 offset:65535 gds     ; encoding: [0xff,0xff,0x87,0xd9,0x01,0x00,0x00,0x00]

ds_inc_src2_u64 v255 offset:65535
// CHECK: ds_inc_src2_u64 v255 offset:65535       ; encoding: [0xff,0xff,0x86,0xd9,0xff,0x00,0x00,0x00]

ds_inc_u32 v1, v2
// CHECK: ds_inc_u32 v1, v2                       ; encoding: [0x00,0x00,0x06,0xd8,0x01,0x02,0x00,0x00]

ds_inc_u32 v1, v2 offset:0
// CHECK: ds_inc_u32 v1, v2                       ; encoding: [0x00,0x00,0x06,0xd8,0x01,0x02,0x00,0x00]

ds_inc_u32 v1, v2 offset:4
// CHECK: ds_inc_u32 v1, v2 offset:4              ; encoding: [0x04,0x00,0x06,0xd8,0x01,0x02,0x00,0x00]

ds_inc_u32 v1, v2 offset:65535
// CHECK: ds_inc_u32 v1, v2 offset:65535          ; encoding: [0xff,0xff,0x06,0xd8,0x01,0x02,0x00,0x00]

ds_inc_u32 v1, v2 offset:65535 gds
// CHECK: ds_inc_u32 v1, v2 offset:65535 gds      ; encoding: [0xff,0xff,0x07,0xd8,0x01,0x02,0x00,0x00]

ds_inc_u32 v1, v255 offset:65535
// CHECK: ds_inc_u32 v1, v255 offset:65535        ; encoding: [0xff,0xff,0x06,0xd8,0x01,0xff,0x00,0x00]

ds_inc_u32 v255, v2 offset:65535
// CHECK: ds_inc_u32 v255, v2 offset:65535        ; encoding: [0xff,0xff,0x06,0xd8,0xff,0x02,0x00,0x00]

ds_inc_u64 v1, v[254:255] offset:65535
// CHECK: ds_inc_u64 v1, v[254:255] offset:65535  ; encoding: [0xff,0xff,0x86,0xd8,0x01,0xfe,0x00,0x00]

ds_inc_u64 v1, v[2:3]
// CHECK: ds_inc_u64 v1, v[2:3]                   ; encoding: [0x00,0x00,0x86,0xd8,0x01,0x02,0x00,0x00]

ds_inc_u64 v1, v[2:3] offset:0
// CHECK: ds_inc_u64 v1, v[2:3]                   ; encoding: [0x00,0x00,0x86,0xd8,0x01,0x02,0x00,0x00]

ds_inc_u64 v1, v[2:3] offset:4
// CHECK: ds_inc_u64 v1, v[2:3] offset:4          ; encoding: [0x04,0x00,0x86,0xd8,0x01,0x02,0x00,0x00]

ds_inc_u64 v1, v[2:3] offset:65535
// CHECK: ds_inc_u64 v1, v[2:3] offset:65535      ; encoding: [0xff,0xff,0x86,0xd8,0x01,0x02,0x00,0x00]

ds_inc_u64 v1, v[2:3] offset:65535 gds
// CHECK: ds_inc_u64 v1, v[2:3] offset:65535 gds  ; encoding: [0xff,0xff,0x87,0xd8,0x01,0x02,0x00,0x00]

ds_inc_u64 v255, v[2:3] offset:65535
// CHECK: ds_inc_u64 v255, v[2:3] offset:65535    ; encoding: [0xff,0xff,0x86,0xd8,0xff,0x02,0x00,0x00]

ds_max_f32 v1, v2
// CHECK: ds_max_f32 v1, v2                       ; encoding: [0x00,0x00,0x26,0xd8,0x01,0x02,0x00,0x00]

ds_max_f32 v1, v2 offset:0
// CHECK: ds_max_f32 v1, v2                       ; encoding: [0x00,0x00,0x26,0xd8,0x01,0x02,0x00,0x00]

ds_max_f32 v1, v2 offset:4
// CHECK: ds_max_f32 v1, v2 offset:4              ; encoding: [0x04,0x00,0x26,0xd8,0x01,0x02,0x00,0x00]

ds_max_f32 v1, v2 offset:65535
// CHECK: ds_max_f32 v1, v2 offset:65535          ; encoding: [0xff,0xff,0x26,0xd8,0x01,0x02,0x00,0x00]

ds_max_f32 v1, v2 offset:65535 gds
// CHECK: ds_max_f32 v1, v2 offset:65535 gds      ; encoding: [0xff,0xff,0x27,0xd8,0x01,0x02,0x00,0x00]

ds_max_f32 v1, v255 offset:65535
// CHECK: ds_max_f32 v1, v255 offset:65535        ; encoding: [0xff,0xff,0x26,0xd8,0x01,0xff,0x00,0x00]

ds_max_f32 v255, v2 offset:65535
// CHECK: ds_max_f32 v255, v2 offset:65535        ; encoding: [0xff,0xff,0x26,0xd8,0xff,0x02,0x00,0x00]

ds_max_f64 v1, v[254:255] offset:65535
// CHECK: ds_max_f64 v1, v[254:255] offset:65535  ; encoding: [0xff,0xff,0xa6,0xd8,0x01,0xfe,0x00,0x00]

ds_max_f64 v1, v[2:3]
// CHECK: ds_max_f64 v1, v[2:3]                   ; encoding: [0x00,0x00,0xa6,0xd8,0x01,0x02,0x00,0x00]

ds_max_f64 v1, v[2:3] offset:0
// CHECK: ds_max_f64 v1, v[2:3]                   ; encoding: [0x00,0x00,0xa6,0xd8,0x01,0x02,0x00,0x00]

ds_max_f64 v1, v[2:3] offset:4
// CHECK: ds_max_f64 v1, v[2:3] offset:4          ; encoding: [0x04,0x00,0xa6,0xd8,0x01,0x02,0x00,0x00]

ds_max_f64 v1, v[2:3] offset:65535
// CHECK: ds_max_f64 v1, v[2:3] offset:65535      ; encoding: [0xff,0xff,0xa6,0xd8,0x01,0x02,0x00,0x00]

ds_max_f64 v1, v[2:3] offset:65535 gds
// CHECK: ds_max_f64 v1, v[2:3] offset:65535 gds  ; encoding: [0xff,0xff,0xa7,0xd8,0x01,0x02,0x00,0x00]

ds_max_f64 v255, v[2:3] offset:65535
// CHECK: ds_max_f64 v255, v[2:3] offset:65535    ; encoding: [0xff,0xff,0xa6,0xd8,0xff,0x02,0x00,0x00]

ds_max_i32 v1, v2
// CHECK: ds_max_i32 v1, v2                       ; encoding: [0x00,0x00,0x0c,0xd8,0x01,0x02,0x00,0x00]

ds_max_i32 v1, v2 offset:0
// CHECK: ds_max_i32 v1, v2                       ; encoding: [0x00,0x00,0x0c,0xd8,0x01,0x02,0x00,0x00]

ds_max_i32 v1, v2 offset:4
// CHECK: ds_max_i32 v1, v2 offset:4              ; encoding: [0x04,0x00,0x0c,0xd8,0x01,0x02,0x00,0x00]

ds_max_i32 v1, v2 offset:65535
// CHECK: ds_max_i32 v1, v2 offset:65535          ; encoding: [0xff,0xff,0x0c,0xd8,0x01,0x02,0x00,0x00]

ds_max_i32 v1, v2 offset:65535 gds
// CHECK: ds_max_i32 v1, v2 offset:65535 gds      ; encoding: [0xff,0xff,0x0d,0xd8,0x01,0x02,0x00,0x00]

ds_max_i32 v1, v255 offset:65535
// CHECK: ds_max_i32 v1, v255 offset:65535        ; encoding: [0xff,0xff,0x0c,0xd8,0x01,0xff,0x00,0x00]

ds_max_i32 v255, v2 offset:65535
// CHECK: ds_max_i32 v255, v2 offset:65535        ; encoding: [0xff,0xff,0x0c,0xd8,0xff,0x02,0x00,0x00]

ds_max_i64 v1, v[254:255] offset:65535
// CHECK: ds_max_i64 v1, v[254:255] offset:65535  ; encoding: [0xff,0xff,0x8c,0xd8,0x01,0xfe,0x00,0x00]

ds_max_i64 v1, v[2:3]
// CHECK: ds_max_i64 v1, v[2:3]                   ; encoding: [0x00,0x00,0x8c,0xd8,0x01,0x02,0x00,0x00]

ds_max_i64 v1, v[2:3] offset:0
// CHECK: ds_max_i64 v1, v[2:3]                   ; encoding: [0x00,0x00,0x8c,0xd8,0x01,0x02,0x00,0x00]

ds_max_i64 v1, v[2:3] offset:4
// CHECK: ds_max_i64 v1, v[2:3] offset:4          ; encoding: [0x04,0x00,0x8c,0xd8,0x01,0x02,0x00,0x00]

ds_max_i64 v1, v[2:3] offset:65535
// CHECK: ds_max_i64 v1, v[2:3] offset:65535      ; encoding: [0xff,0xff,0x8c,0xd8,0x01,0x02,0x00,0x00]

ds_max_i64 v1, v[2:3] offset:65535 gds
// CHECK: ds_max_i64 v1, v[2:3] offset:65535 gds  ; encoding: [0xff,0xff,0x8d,0xd8,0x01,0x02,0x00,0x00]

ds_max_i64 v255, v[2:3] offset:65535
// CHECK: ds_max_i64 v255, v[2:3] offset:65535    ; encoding: [0xff,0xff,0x8c,0xd8,0xff,0x02,0x00,0x00]

ds_max_rtn_f32 v255, v1, v2 offset:65535
// CHECK: ds_max_rtn_f32 v255, v1, v2 offset:65535 ; encoding: [0xff,0xff,0x66,0xd8,0x01,0x02,0x00,0xff]

ds_max_rtn_f32 v5, v1, v2
// CHECK: ds_max_rtn_f32 v5, v1, v2               ; encoding: [0x00,0x00,0x66,0xd8,0x01,0x02,0x00,0x05]

ds_max_rtn_f32 v5, v1, v2 offset:0
// CHECK: ds_max_rtn_f32 v5, v1, v2               ; encoding: [0x00,0x00,0x66,0xd8,0x01,0x02,0x00,0x05]

ds_max_rtn_f32 v5, v1, v2 offset:4
// CHECK: ds_max_rtn_f32 v5, v1, v2 offset:4      ; encoding: [0x04,0x00,0x66,0xd8,0x01,0x02,0x00,0x05]

ds_max_rtn_f32 v5, v1, v2 offset:65535
// CHECK: ds_max_rtn_f32 v5, v1, v2 offset:65535  ; encoding: [0xff,0xff,0x66,0xd8,0x01,0x02,0x00,0x05]

ds_max_rtn_f32 v5, v1, v2 offset:65535 gds
// CHECK: ds_max_rtn_f32 v5, v1, v2 offset:65535 gds ; encoding: [0xff,0xff,0x67,0xd8,0x01,0x02,0x00,0x05]

ds_max_rtn_f32 v5, v1, v255 offset:65535
// CHECK: ds_max_rtn_f32 v5, v1, v255 offset:65535 ; encoding: [0xff,0xff,0x66,0xd8,0x01,0xff,0x00,0x05]

ds_max_rtn_f32 v5, v255, v2 offset:65535
// CHECK: ds_max_rtn_f32 v5, v255, v2 offset:65535 ; encoding: [0xff,0xff,0x66,0xd8,0xff,0x02,0x00,0x05]

ds_max_rtn_f64 v[254:255], v1, v[2:3] offset:65535
// CHECK: ds_max_rtn_f64 v[254:255], v1, v[2:3] offset:65535 ; encoding: [0xff,0xff,0xe6,0xd8,0x01,0x02,0x00,0xfe]

ds_max_rtn_f64 v[5:6], v1, v[254:255] offset:65535
// CHECK: ds_max_rtn_f64 v[5:6], v1, v[254:255] offset:65535 ; encoding: [0xff,0xff,0xe6,0xd8,0x01,0xfe,0x00,0x05]

ds_max_rtn_f64 v[5:6], v1, v[2:3]
// CHECK: ds_max_rtn_f64 v[5:6], v1, v[2:3]       ; encoding: [0x00,0x00,0xe6,0xd8,0x01,0x02,0x00,0x05]

ds_max_rtn_f64 v[5:6], v1, v[2:3] offset:0
// CHECK: ds_max_rtn_f64 v[5:6], v1, v[2:3]       ; encoding: [0x00,0x00,0xe6,0xd8,0x01,0x02,0x00,0x05]

ds_max_rtn_f64 v[5:6], v1, v[2:3] offset:4
// CHECK: ds_max_rtn_f64 v[5:6], v1, v[2:3] offset:4 ; encoding: [0x04,0x00,0xe6,0xd8,0x01,0x02,0x00,0x05]

ds_max_rtn_f64 v[5:6], v1, v[2:3] offset:65535
// CHECK: ds_max_rtn_f64 v[5:6], v1, v[2:3] offset:65535 ; encoding: [0xff,0xff,0xe6,0xd8,0x01,0x02,0x00,0x05]

ds_max_rtn_f64 v[5:6], v1, v[2:3] offset:65535 gds
// CHECK: ds_max_rtn_f64 v[5:6], v1, v[2:3] offset:65535 gds ; encoding: [0xff,0xff,0xe7,0xd8,0x01,0x02,0x00,0x05]

ds_max_rtn_f64 v[5:6], v255, v[2:3] offset:65535
// CHECK: ds_max_rtn_f64 v[5:6], v255, v[2:3] offset:65535 ; encoding: [0xff,0xff,0xe6,0xd8,0xff,0x02,0x00,0x05]

ds_max_rtn_i32 v255, v1, v2 offset:65535
// CHECK: ds_max_rtn_i32 v255, v1, v2 offset:65535 ; encoding: [0xff,0xff,0x4c,0xd8,0x01,0x02,0x00,0xff]

ds_max_rtn_i32 v5, v1, v2
// CHECK: ds_max_rtn_i32 v5, v1, v2               ; encoding: [0x00,0x00,0x4c,0xd8,0x01,0x02,0x00,0x05]

ds_max_rtn_i32 v5, v1, v2 offset:0
// CHECK: ds_max_rtn_i32 v5, v1, v2               ; encoding: [0x00,0x00,0x4c,0xd8,0x01,0x02,0x00,0x05]

ds_max_rtn_i32 v5, v1, v2 offset:4
// CHECK: ds_max_rtn_i32 v5, v1, v2 offset:4      ; encoding: [0x04,0x00,0x4c,0xd8,0x01,0x02,0x00,0x05]

ds_max_rtn_i32 v5, v1, v2 offset:65535
// CHECK: ds_max_rtn_i32 v5, v1, v2 offset:65535  ; encoding: [0xff,0xff,0x4c,0xd8,0x01,0x02,0x00,0x05]

ds_max_rtn_i32 v5, v1, v2 offset:65535 gds
// CHECK: ds_max_rtn_i32 v5, v1, v2 offset:65535 gds ; encoding: [0xff,0xff,0x4d,0xd8,0x01,0x02,0x00,0x05]

ds_max_rtn_i32 v5, v1, v255 offset:65535
// CHECK: ds_max_rtn_i32 v5, v1, v255 offset:65535 ; encoding: [0xff,0xff,0x4c,0xd8,0x01,0xff,0x00,0x05]

ds_max_rtn_i32 v5, v255, v2 offset:65535
// CHECK: ds_max_rtn_i32 v5, v255, v2 offset:65535 ; encoding: [0xff,0xff,0x4c,0xd8,0xff,0x02,0x00,0x05]

ds_max_rtn_i64 v[254:255], v1, v[2:3] offset:65535
// CHECK: ds_max_rtn_i64 v[254:255], v1, v[2:3] offset:65535 ; encoding: [0xff,0xff,0xcc,0xd8,0x01,0x02,0x00,0xfe]

ds_max_rtn_i64 v[5:6], v1, v[254:255] offset:65535
// CHECK: ds_max_rtn_i64 v[5:6], v1, v[254:255] offset:65535 ; encoding: [0xff,0xff,0xcc,0xd8,0x01,0xfe,0x00,0x05]

ds_max_rtn_i64 v[5:6], v1, v[2:3]
// CHECK: ds_max_rtn_i64 v[5:6], v1, v[2:3]       ; encoding: [0x00,0x00,0xcc,0xd8,0x01,0x02,0x00,0x05]

ds_max_rtn_i64 v[5:6], v1, v[2:3] offset:0
// CHECK: ds_max_rtn_i64 v[5:6], v1, v[2:3]       ; encoding: [0x00,0x00,0xcc,0xd8,0x01,0x02,0x00,0x05]

ds_max_rtn_i64 v[5:6], v1, v[2:3] offset:4
// CHECK: ds_max_rtn_i64 v[5:6], v1, v[2:3] offset:4 ; encoding: [0x04,0x00,0xcc,0xd8,0x01,0x02,0x00,0x05]

ds_max_rtn_i64 v[5:6], v1, v[2:3] offset:65535
// CHECK: ds_max_rtn_i64 v[5:6], v1, v[2:3] offset:65535 ; encoding: [0xff,0xff,0xcc,0xd8,0x01,0x02,0x00,0x05]

ds_max_rtn_i64 v[5:6], v1, v[2:3] offset:65535 gds
// CHECK: ds_max_rtn_i64 v[5:6], v1, v[2:3] offset:65535 gds ; encoding: [0xff,0xff,0xcd,0xd8,0x01,0x02,0x00,0x05]

ds_max_rtn_i64 v[5:6], v255, v[2:3] offset:65535
// CHECK: ds_max_rtn_i64 v[5:6], v255, v[2:3] offset:65535 ; encoding: [0xff,0xff,0xcc,0xd8,0xff,0x02,0x00,0x05]

ds_max_rtn_u32 v255, v1, v2 offset:65535
// CHECK: ds_max_rtn_u32 v255, v1, v2 offset:65535 ; encoding: [0xff,0xff,0x50,0xd8,0x01,0x02,0x00,0xff]

ds_max_rtn_u32 v5, v1, v2
// CHECK: ds_max_rtn_u32 v5, v1, v2               ; encoding: [0x00,0x00,0x50,0xd8,0x01,0x02,0x00,0x05]

ds_max_rtn_u32 v5, v1, v2 offset:0
// CHECK: ds_max_rtn_u32 v5, v1, v2               ; encoding: [0x00,0x00,0x50,0xd8,0x01,0x02,0x00,0x05]

ds_max_rtn_u32 v5, v1, v2 offset:4
// CHECK: ds_max_rtn_u32 v5, v1, v2 offset:4      ; encoding: [0x04,0x00,0x50,0xd8,0x01,0x02,0x00,0x05]

ds_max_rtn_u32 v5, v1, v2 offset:65535
// CHECK: ds_max_rtn_u32 v5, v1, v2 offset:65535  ; encoding: [0xff,0xff,0x50,0xd8,0x01,0x02,0x00,0x05]

ds_max_rtn_u32 v5, v1, v2 offset:65535 gds
// CHECK: ds_max_rtn_u32 v5, v1, v2 offset:65535 gds ; encoding: [0xff,0xff,0x51,0xd8,0x01,0x02,0x00,0x05]

ds_max_rtn_u32 v5, v1, v255 offset:65535
// CHECK: ds_max_rtn_u32 v5, v1, v255 offset:65535 ; encoding: [0xff,0xff,0x50,0xd8,0x01,0xff,0x00,0x05]

ds_max_rtn_u32 v5, v255, v2 offset:65535
// CHECK: ds_max_rtn_u32 v5, v255, v2 offset:65535 ; encoding: [0xff,0xff,0x50,0xd8,0xff,0x02,0x00,0x05]

ds_max_rtn_u64 v[254:255], v1, v[2:3] offset:65535
// CHECK: ds_max_rtn_u64 v[254:255], v1, v[2:3] offset:65535 ; encoding: [0xff,0xff,0xd0,0xd8,0x01,0x02,0x00,0xfe]

ds_max_rtn_u64 v[5:6], v1, v[254:255] offset:65535
// CHECK: ds_max_rtn_u64 v[5:6], v1, v[254:255] offset:65535 ; encoding: [0xff,0xff,0xd0,0xd8,0x01,0xfe,0x00,0x05]

ds_max_rtn_u64 v[5:6], v1, v[2:3]
// CHECK: ds_max_rtn_u64 v[5:6], v1, v[2:3]       ; encoding: [0x00,0x00,0xd0,0xd8,0x01,0x02,0x00,0x05]

ds_max_rtn_u64 v[5:6], v1, v[2:3] offset:0
// CHECK: ds_max_rtn_u64 v[5:6], v1, v[2:3]       ; encoding: [0x00,0x00,0xd0,0xd8,0x01,0x02,0x00,0x05]

ds_max_rtn_u64 v[5:6], v1, v[2:3] offset:4
// CHECK: ds_max_rtn_u64 v[5:6], v1, v[2:3] offset:4 ; encoding: [0x04,0x00,0xd0,0xd8,0x01,0x02,0x00,0x05]

ds_max_rtn_u64 v[5:6], v1, v[2:3] offset:65535
// CHECK: ds_max_rtn_u64 v[5:6], v1, v[2:3] offset:65535 ; encoding: [0xff,0xff,0xd0,0xd8,0x01,0x02,0x00,0x05]

ds_max_rtn_u64 v[5:6], v1, v[2:3] offset:65535 gds
// CHECK: ds_max_rtn_u64 v[5:6], v1, v[2:3] offset:65535 gds ; encoding: [0xff,0xff,0xd1,0xd8,0x01,0x02,0x00,0x05]

ds_max_rtn_u64 v[5:6], v255, v[2:3] offset:65535
// CHECK: ds_max_rtn_u64 v[5:6], v255, v[2:3] offset:65535 ; encoding: [0xff,0xff,0xd0,0xd8,0xff,0x02,0x00,0x05]

ds_max_src2_f32 v1
// CHECK: ds_max_src2_f32 v1                      ; encoding: [0x00,0x00,0x26,0xd9,0x01,0x00,0x00,0x00]

ds_max_src2_f32 v1 offset:0
// CHECK: ds_max_src2_f32 v1                      ; encoding: [0x00,0x00,0x26,0xd9,0x01,0x00,0x00,0x00]

ds_max_src2_f32 v1 offset:4
// CHECK: ds_max_src2_f32 v1 offset:4             ; encoding: [0x04,0x00,0x26,0xd9,0x01,0x00,0x00,0x00]

ds_max_src2_f32 v1 offset:65535
// CHECK: ds_max_src2_f32 v1 offset:65535         ; encoding: [0xff,0xff,0x26,0xd9,0x01,0x00,0x00,0x00]

ds_max_src2_f32 v1 offset:65535 gds
// CHECK: ds_max_src2_f32 v1 offset:65535 gds     ; encoding: [0xff,0xff,0x27,0xd9,0x01,0x00,0x00,0x00]

ds_max_src2_f32 v255 offset:65535
// CHECK: ds_max_src2_f32 v255 offset:65535       ; encoding: [0xff,0xff,0x26,0xd9,0xff,0x00,0x00,0x00]

ds_max_src2_f64 v1
// CHECK: ds_max_src2_f64 v1                      ; encoding: [0x00,0x00,0xa6,0xd9,0x01,0x00,0x00,0x00]

ds_max_src2_f64 v1 offset:0
// CHECK: ds_max_src2_f64 v1                      ; encoding: [0x00,0x00,0xa6,0xd9,0x01,0x00,0x00,0x00]

ds_max_src2_f64 v1 offset:4
// CHECK: ds_max_src2_f64 v1 offset:4             ; encoding: [0x04,0x00,0xa6,0xd9,0x01,0x00,0x00,0x00]

ds_max_src2_f64 v1 offset:65535
// CHECK: ds_max_src2_f64 v1 offset:65535         ; encoding: [0xff,0xff,0xa6,0xd9,0x01,0x00,0x00,0x00]

ds_max_src2_f64 v1 offset:65535 gds
// CHECK: ds_max_src2_f64 v1 offset:65535 gds     ; encoding: [0xff,0xff,0xa7,0xd9,0x01,0x00,0x00,0x00]

ds_max_src2_f64 v255 offset:65535
// CHECK: ds_max_src2_f64 v255 offset:65535       ; encoding: [0xff,0xff,0xa6,0xd9,0xff,0x00,0x00,0x00]

ds_max_src2_i32 v1
// CHECK: ds_max_src2_i32 v1                      ; encoding: [0x00,0x00,0x0c,0xd9,0x01,0x00,0x00,0x00]

ds_max_src2_i32 v1 offset:0
// CHECK: ds_max_src2_i32 v1                      ; encoding: [0x00,0x00,0x0c,0xd9,0x01,0x00,0x00,0x00]

ds_max_src2_i32 v1 offset:4
// CHECK: ds_max_src2_i32 v1 offset:4             ; encoding: [0x04,0x00,0x0c,0xd9,0x01,0x00,0x00,0x00]

ds_max_src2_i32 v1 offset:65535
// CHECK: ds_max_src2_i32 v1 offset:65535         ; encoding: [0xff,0xff,0x0c,0xd9,0x01,0x00,0x00,0x00]

ds_max_src2_i32 v1 offset:65535 gds
// CHECK: ds_max_src2_i32 v1 offset:65535 gds     ; encoding: [0xff,0xff,0x0d,0xd9,0x01,0x00,0x00,0x00]

ds_max_src2_i32 v255 offset:65535
// CHECK: ds_max_src2_i32 v255 offset:65535       ; encoding: [0xff,0xff,0x0c,0xd9,0xff,0x00,0x00,0x00]

ds_max_src2_i64 v1
// CHECK: ds_max_src2_i64 v1                      ; encoding: [0x00,0x00,0x8c,0xd9,0x01,0x00,0x00,0x00]

ds_max_src2_i64 v1 offset:0
// CHECK: ds_max_src2_i64 v1                      ; encoding: [0x00,0x00,0x8c,0xd9,0x01,0x00,0x00,0x00]

ds_max_src2_i64 v1 offset:4
// CHECK: ds_max_src2_i64 v1 offset:4             ; encoding: [0x04,0x00,0x8c,0xd9,0x01,0x00,0x00,0x00]

ds_max_src2_i64 v1 offset:65535
// CHECK: ds_max_src2_i64 v1 offset:65535         ; encoding: [0xff,0xff,0x8c,0xd9,0x01,0x00,0x00,0x00]

ds_max_src2_i64 v1 offset:65535 gds
// CHECK: ds_max_src2_i64 v1 offset:65535 gds     ; encoding: [0xff,0xff,0x8d,0xd9,0x01,0x00,0x00,0x00]

ds_max_src2_i64 v255 offset:65535
// CHECK: ds_max_src2_i64 v255 offset:65535       ; encoding: [0xff,0xff,0x8c,0xd9,0xff,0x00,0x00,0x00]

ds_max_src2_u32 v1
// CHECK: ds_max_src2_u32 v1                      ; encoding: [0x00,0x00,0x10,0xd9,0x01,0x00,0x00,0x00]

ds_max_src2_u32 v1 offset:0
// CHECK: ds_max_src2_u32 v1                      ; encoding: [0x00,0x00,0x10,0xd9,0x01,0x00,0x00,0x00]

ds_max_src2_u32 v1 offset:4
// CHECK: ds_max_src2_u32 v1 offset:4             ; encoding: [0x04,0x00,0x10,0xd9,0x01,0x00,0x00,0x00]

ds_max_src2_u32 v1 offset:65535
// CHECK: ds_max_src2_u32 v1 offset:65535         ; encoding: [0xff,0xff,0x10,0xd9,0x01,0x00,0x00,0x00]

ds_max_src2_u32 v1 offset:65535 gds
// CHECK: ds_max_src2_u32 v1 offset:65535 gds     ; encoding: [0xff,0xff,0x11,0xd9,0x01,0x00,0x00,0x00]

ds_max_src2_u32 v255 offset:65535
// CHECK: ds_max_src2_u32 v255 offset:65535       ; encoding: [0xff,0xff,0x10,0xd9,0xff,0x00,0x00,0x00]

ds_max_src2_u64 v1
// CHECK: ds_max_src2_u64 v1                      ; encoding: [0x00,0x00,0x90,0xd9,0x01,0x00,0x00,0x00]

ds_max_src2_u64 v1 offset:0
// CHECK: ds_max_src2_u64 v1                      ; encoding: [0x00,0x00,0x90,0xd9,0x01,0x00,0x00,0x00]

ds_max_src2_u64 v1 offset:4
// CHECK: ds_max_src2_u64 v1 offset:4             ; encoding: [0x04,0x00,0x90,0xd9,0x01,0x00,0x00,0x00]

ds_max_src2_u64 v1 offset:65535
// CHECK: ds_max_src2_u64 v1 offset:65535         ; encoding: [0xff,0xff,0x90,0xd9,0x01,0x00,0x00,0x00]

ds_max_src2_u64 v1 offset:65535 gds
// CHECK: ds_max_src2_u64 v1 offset:65535 gds     ; encoding: [0xff,0xff,0x91,0xd9,0x01,0x00,0x00,0x00]

ds_max_src2_u64 v255 offset:65535
// CHECK: ds_max_src2_u64 v255 offset:65535       ; encoding: [0xff,0xff,0x90,0xd9,0xff,0x00,0x00,0x00]

ds_max_u32 v1, v2
// CHECK: ds_max_u32 v1, v2                       ; encoding: [0x00,0x00,0x10,0xd8,0x01,0x02,0x00,0x00]

ds_max_u32 v1, v2 offset:0
// CHECK: ds_max_u32 v1, v2                       ; encoding: [0x00,0x00,0x10,0xd8,0x01,0x02,0x00,0x00]

ds_max_u32 v1, v2 offset:4
// CHECK: ds_max_u32 v1, v2 offset:4              ; encoding: [0x04,0x00,0x10,0xd8,0x01,0x02,0x00,0x00]

ds_max_u32 v1, v2 offset:65535
// CHECK: ds_max_u32 v1, v2 offset:65535          ; encoding: [0xff,0xff,0x10,0xd8,0x01,0x02,0x00,0x00]

ds_max_u32 v1, v2 offset:65535 gds
// CHECK: ds_max_u32 v1, v2 offset:65535 gds      ; encoding: [0xff,0xff,0x11,0xd8,0x01,0x02,0x00,0x00]

ds_max_u32 v1, v255 offset:65535
// CHECK: ds_max_u32 v1, v255 offset:65535        ; encoding: [0xff,0xff,0x10,0xd8,0x01,0xff,0x00,0x00]

ds_max_u32 v255, v2 offset:65535
// CHECK: ds_max_u32 v255, v2 offset:65535        ; encoding: [0xff,0xff,0x10,0xd8,0xff,0x02,0x00,0x00]

ds_max_u64 v1, v[254:255] offset:65535
// CHECK: ds_max_u64 v1, v[254:255] offset:65535  ; encoding: [0xff,0xff,0x90,0xd8,0x01,0xfe,0x00,0x00]

ds_max_u64 v1, v[2:3]
// CHECK: ds_max_u64 v1, v[2:3]                   ; encoding: [0x00,0x00,0x90,0xd8,0x01,0x02,0x00,0x00]

ds_max_u64 v1, v[2:3] offset:0
// CHECK: ds_max_u64 v1, v[2:3]                   ; encoding: [0x00,0x00,0x90,0xd8,0x01,0x02,0x00,0x00]

ds_max_u64 v1, v[2:3] offset:4
// CHECK: ds_max_u64 v1, v[2:3] offset:4          ; encoding: [0x04,0x00,0x90,0xd8,0x01,0x02,0x00,0x00]

ds_max_u64 v1, v[2:3] offset:65535
// CHECK: ds_max_u64 v1, v[2:3] offset:65535      ; encoding: [0xff,0xff,0x90,0xd8,0x01,0x02,0x00,0x00]

ds_max_u64 v1, v[2:3] offset:65535 gds
// CHECK: ds_max_u64 v1, v[2:3] offset:65535 gds  ; encoding: [0xff,0xff,0x91,0xd8,0x01,0x02,0x00,0x00]

ds_max_u64 v255, v[2:3] offset:65535
// CHECK: ds_max_u64 v255, v[2:3] offset:65535    ; encoding: [0xff,0xff,0x90,0xd8,0xff,0x02,0x00,0x00]

ds_min_f32 v1, v2
// CHECK: ds_min_f32 v1, v2                       ; encoding: [0x00,0x00,0x24,0xd8,0x01,0x02,0x00,0x00]

ds_min_f32 v1, v2 offset:0
// CHECK: ds_min_f32 v1, v2                       ; encoding: [0x00,0x00,0x24,0xd8,0x01,0x02,0x00,0x00]

ds_min_f32 v1, v2 offset:4
// CHECK: ds_min_f32 v1, v2 offset:4              ; encoding: [0x04,0x00,0x24,0xd8,0x01,0x02,0x00,0x00]

ds_min_f32 v1, v2 offset:65535
// CHECK: ds_min_f32 v1, v2 offset:65535          ; encoding: [0xff,0xff,0x24,0xd8,0x01,0x02,0x00,0x00]

ds_min_f32 v1, v2 offset:65535 gds
// CHECK: ds_min_f32 v1, v2 offset:65535 gds      ; encoding: [0xff,0xff,0x25,0xd8,0x01,0x02,0x00,0x00]

ds_min_f32 v1, v255 offset:65535
// CHECK: ds_min_f32 v1, v255 offset:65535        ; encoding: [0xff,0xff,0x24,0xd8,0x01,0xff,0x00,0x00]

ds_min_f32 v255, v2 offset:65535
// CHECK: ds_min_f32 v255, v2 offset:65535        ; encoding: [0xff,0xff,0x24,0xd8,0xff,0x02,0x00,0x00]

ds_min_f64 v1, v[254:255] offset:65535
// CHECK: ds_min_f64 v1, v[254:255] offset:65535  ; encoding: [0xff,0xff,0xa4,0xd8,0x01,0xfe,0x00,0x00]

ds_min_f64 v1, v[2:3]
// CHECK: ds_min_f64 v1, v[2:3]                   ; encoding: [0x00,0x00,0xa4,0xd8,0x01,0x02,0x00,0x00]

ds_min_f64 v1, v[2:3] offset:0
// CHECK: ds_min_f64 v1, v[2:3]                   ; encoding: [0x00,0x00,0xa4,0xd8,0x01,0x02,0x00,0x00]

ds_min_f64 v1, v[2:3] offset:4
// CHECK: ds_min_f64 v1, v[2:3] offset:4          ; encoding: [0x04,0x00,0xa4,0xd8,0x01,0x02,0x00,0x00]

ds_min_f64 v1, v[2:3] offset:65535
// CHECK: ds_min_f64 v1, v[2:3] offset:65535      ; encoding: [0xff,0xff,0xa4,0xd8,0x01,0x02,0x00,0x00]

ds_min_f64 v1, v[2:3] offset:65535 gds
// CHECK: ds_min_f64 v1, v[2:3] offset:65535 gds  ; encoding: [0xff,0xff,0xa5,0xd8,0x01,0x02,0x00,0x00]

ds_min_f64 v255, v[2:3] offset:65535
// CHECK: ds_min_f64 v255, v[2:3] offset:65535    ; encoding: [0xff,0xff,0xa4,0xd8,0xff,0x02,0x00,0x00]

ds_min_i32 v1, v2
// CHECK: ds_min_i32 v1, v2                       ; encoding: [0x00,0x00,0x0a,0xd8,0x01,0x02,0x00,0x00]

ds_min_i32 v1, v2 offset:0
// CHECK: ds_min_i32 v1, v2                       ; encoding: [0x00,0x00,0x0a,0xd8,0x01,0x02,0x00,0x00]

ds_min_i32 v1, v2 offset:4
// CHECK: ds_min_i32 v1, v2 offset:4              ; encoding: [0x04,0x00,0x0a,0xd8,0x01,0x02,0x00,0x00]

ds_min_i32 v1, v2 offset:65535
// CHECK: ds_min_i32 v1, v2 offset:65535          ; encoding: [0xff,0xff,0x0a,0xd8,0x01,0x02,0x00,0x00]

ds_min_i32 v1, v2 offset:65535 gds
// CHECK: ds_min_i32 v1, v2 offset:65535 gds      ; encoding: [0xff,0xff,0x0b,0xd8,0x01,0x02,0x00,0x00]

ds_min_i32 v1, v255 offset:65535
// CHECK: ds_min_i32 v1, v255 offset:65535        ; encoding: [0xff,0xff,0x0a,0xd8,0x01,0xff,0x00,0x00]

ds_min_i32 v255, v2 offset:65535
// CHECK: ds_min_i32 v255, v2 offset:65535        ; encoding: [0xff,0xff,0x0a,0xd8,0xff,0x02,0x00,0x00]

ds_min_i64 v1, v[254:255] offset:65535
// CHECK: ds_min_i64 v1, v[254:255] offset:65535  ; encoding: [0xff,0xff,0x8a,0xd8,0x01,0xfe,0x00,0x00]

ds_min_i64 v1, v[2:3]
// CHECK: ds_min_i64 v1, v[2:3]                   ; encoding: [0x00,0x00,0x8a,0xd8,0x01,0x02,0x00,0x00]

ds_min_i64 v1, v[2:3] offset:0
// CHECK: ds_min_i64 v1, v[2:3]                   ; encoding: [0x00,0x00,0x8a,0xd8,0x01,0x02,0x00,0x00]

ds_min_i64 v1, v[2:3] offset:4
// CHECK: ds_min_i64 v1, v[2:3] offset:4          ; encoding: [0x04,0x00,0x8a,0xd8,0x01,0x02,0x00,0x00]

ds_min_i64 v1, v[2:3] offset:65535
// CHECK: ds_min_i64 v1, v[2:3] offset:65535      ; encoding: [0xff,0xff,0x8a,0xd8,0x01,0x02,0x00,0x00]

ds_min_i64 v1, v[2:3] offset:65535 gds
// CHECK: ds_min_i64 v1, v[2:3] offset:65535 gds  ; encoding: [0xff,0xff,0x8b,0xd8,0x01,0x02,0x00,0x00]

ds_min_i64 v255, v[2:3] offset:65535
// CHECK: ds_min_i64 v255, v[2:3] offset:65535    ; encoding: [0xff,0xff,0x8a,0xd8,0xff,0x02,0x00,0x00]

ds_min_rtn_f32 v255, v1, v2 offset:65535
// CHECK: ds_min_rtn_f32 v255, v1, v2 offset:65535 ; encoding: [0xff,0xff,0x64,0xd8,0x01,0x02,0x00,0xff]

ds_min_rtn_f32 v5, v1, v2
// CHECK: ds_min_rtn_f32 v5, v1, v2               ; encoding: [0x00,0x00,0x64,0xd8,0x01,0x02,0x00,0x05]

ds_min_rtn_f32 v5, v1, v2 offset:0
// CHECK: ds_min_rtn_f32 v5, v1, v2               ; encoding: [0x00,0x00,0x64,0xd8,0x01,0x02,0x00,0x05]

ds_min_rtn_f32 v5, v1, v2 offset:4
// CHECK: ds_min_rtn_f32 v5, v1, v2 offset:4      ; encoding: [0x04,0x00,0x64,0xd8,0x01,0x02,0x00,0x05]

ds_min_rtn_f32 v5, v1, v2 offset:65535
// CHECK: ds_min_rtn_f32 v5, v1, v2 offset:65535  ; encoding: [0xff,0xff,0x64,0xd8,0x01,0x02,0x00,0x05]

ds_min_rtn_f32 v5, v1, v2 offset:65535 gds
// CHECK: ds_min_rtn_f32 v5, v1, v2 offset:65535 gds ; encoding: [0xff,0xff,0x65,0xd8,0x01,0x02,0x00,0x05]

ds_min_rtn_f32 v5, v1, v255 offset:65535
// CHECK: ds_min_rtn_f32 v5, v1, v255 offset:65535 ; encoding: [0xff,0xff,0x64,0xd8,0x01,0xff,0x00,0x05]

ds_min_rtn_f32 v5, v255, v2 offset:65535
// CHECK: ds_min_rtn_f32 v5, v255, v2 offset:65535 ; encoding: [0xff,0xff,0x64,0xd8,0xff,0x02,0x00,0x05]

ds_min_rtn_f64 v[254:255], v1, v[2:3] offset:65535
// CHECK: ds_min_rtn_f64 v[254:255], v1, v[2:3] offset:65535 ; encoding: [0xff,0xff,0xe4,0xd8,0x01,0x02,0x00,0xfe]

ds_min_rtn_f64 v[5:6], v1, v[254:255] offset:65535
// CHECK: ds_min_rtn_f64 v[5:6], v1, v[254:255] offset:65535 ; encoding: [0xff,0xff,0xe4,0xd8,0x01,0xfe,0x00,0x05]

ds_min_rtn_f64 v[5:6], v1, v[2:3]
// CHECK: ds_min_rtn_f64 v[5:6], v1, v[2:3]       ; encoding: [0x00,0x00,0xe4,0xd8,0x01,0x02,0x00,0x05]

ds_min_rtn_f64 v[5:6], v1, v[2:3] offset:0
// CHECK: ds_min_rtn_f64 v[5:6], v1, v[2:3]       ; encoding: [0x00,0x00,0xe4,0xd8,0x01,0x02,0x00,0x05]

ds_min_rtn_f64 v[5:6], v1, v[2:3] offset:4
// CHECK: ds_min_rtn_f64 v[5:6], v1, v[2:3] offset:4 ; encoding: [0x04,0x00,0xe4,0xd8,0x01,0x02,0x00,0x05]

ds_min_rtn_f64 v[5:6], v1, v[2:3] offset:65535
// CHECK: ds_min_rtn_f64 v[5:6], v1, v[2:3] offset:65535 ; encoding: [0xff,0xff,0xe4,0xd8,0x01,0x02,0x00,0x05]

ds_min_rtn_f64 v[5:6], v1, v[2:3] offset:65535 gds
// CHECK: ds_min_rtn_f64 v[5:6], v1, v[2:3] offset:65535 gds ; encoding: [0xff,0xff,0xe5,0xd8,0x01,0x02,0x00,0x05]

ds_min_rtn_f64 v[5:6], v255, v[2:3] offset:65535
// CHECK: ds_min_rtn_f64 v[5:6], v255, v[2:3] offset:65535 ; encoding: [0xff,0xff,0xe4,0xd8,0xff,0x02,0x00,0x05]

ds_min_rtn_i32 v255, v1, v2 offset:65535
// CHECK: ds_min_rtn_i32 v255, v1, v2 offset:65535 ; encoding: [0xff,0xff,0x4a,0xd8,0x01,0x02,0x00,0xff]

ds_min_rtn_i32 v5, v1, v2
// CHECK: ds_min_rtn_i32 v5, v1, v2               ; encoding: [0x00,0x00,0x4a,0xd8,0x01,0x02,0x00,0x05]

ds_min_rtn_i32 v5, v1, v2 offset:0
// CHECK: ds_min_rtn_i32 v5, v1, v2               ; encoding: [0x00,0x00,0x4a,0xd8,0x01,0x02,0x00,0x05]

ds_min_rtn_i32 v5, v1, v2 offset:4
// CHECK: ds_min_rtn_i32 v5, v1, v2 offset:4      ; encoding: [0x04,0x00,0x4a,0xd8,0x01,0x02,0x00,0x05]

ds_min_rtn_i32 v5, v1, v2 offset:65535
// CHECK: ds_min_rtn_i32 v5, v1, v2 offset:65535  ; encoding: [0xff,0xff,0x4a,0xd8,0x01,0x02,0x00,0x05]

ds_min_rtn_i32 v5, v1, v2 offset:65535 gds
// CHECK: ds_min_rtn_i32 v5, v1, v2 offset:65535 gds ; encoding: [0xff,0xff,0x4b,0xd8,0x01,0x02,0x00,0x05]

ds_min_rtn_i32 v5, v1, v255 offset:65535
// CHECK: ds_min_rtn_i32 v5, v1, v255 offset:65535 ; encoding: [0xff,0xff,0x4a,0xd8,0x01,0xff,0x00,0x05]

ds_min_rtn_i32 v5, v255, v2 offset:65535
// CHECK: ds_min_rtn_i32 v5, v255, v2 offset:65535 ; encoding: [0xff,0xff,0x4a,0xd8,0xff,0x02,0x00,0x05]

ds_min_rtn_i64 v[254:255], v1, v[2:3] offset:65535
// CHECK: ds_min_rtn_i64 v[254:255], v1, v[2:3] offset:65535 ; encoding: [0xff,0xff,0xca,0xd8,0x01,0x02,0x00,0xfe]

ds_min_rtn_i64 v[5:6], v1, v[254:255] offset:65535
// CHECK: ds_min_rtn_i64 v[5:6], v1, v[254:255] offset:65535 ; encoding: [0xff,0xff,0xca,0xd8,0x01,0xfe,0x00,0x05]

ds_min_rtn_i64 v[5:6], v1, v[2:3]
// CHECK: ds_min_rtn_i64 v[5:6], v1, v[2:3]       ; encoding: [0x00,0x00,0xca,0xd8,0x01,0x02,0x00,0x05]

ds_min_rtn_i64 v[5:6], v1, v[2:3] offset:0
// CHECK: ds_min_rtn_i64 v[5:6], v1, v[2:3]       ; encoding: [0x00,0x00,0xca,0xd8,0x01,0x02,0x00,0x05]

ds_min_rtn_i64 v[5:6], v1, v[2:3] offset:4
// CHECK: ds_min_rtn_i64 v[5:6], v1, v[2:3] offset:4 ; encoding: [0x04,0x00,0xca,0xd8,0x01,0x02,0x00,0x05]

ds_min_rtn_i64 v[5:6], v1, v[2:3] offset:65535
// CHECK: ds_min_rtn_i64 v[5:6], v1, v[2:3] offset:65535 ; encoding: [0xff,0xff,0xca,0xd8,0x01,0x02,0x00,0x05]

ds_min_rtn_i64 v[5:6], v1, v[2:3] offset:65535 gds
// CHECK: ds_min_rtn_i64 v[5:6], v1, v[2:3] offset:65535 gds ; encoding: [0xff,0xff,0xcb,0xd8,0x01,0x02,0x00,0x05]

ds_min_rtn_i64 v[5:6], v255, v[2:3] offset:65535
// CHECK: ds_min_rtn_i64 v[5:6], v255, v[2:3] offset:65535 ; encoding: [0xff,0xff,0xca,0xd8,0xff,0x02,0x00,0x05]

ds_min_rtn_u32 v255, v1, v2 offset:65535
// CHECK: ds_min_rtn_u32 v255, v1, v2 offset:65535 ; encoding: [0xff,0xff,0x4e,0xd8,0x01,0x02,0x00,0xff]

ds_min_rtn_u32 v5, v1, v2
// CHECK: ds_min_rtn_u32 v5, v1, v2               ; encoding: [0x00,0x00,0x4e,0xd8,0x01,0x02,0x00,0x05]

ds_min_rtn_u32 v5, v1, v2 offset:0
// CHECK: ds_min_rtn_u32 v5, v1, v2               ; encoding: [0x00,0x00,0x4e,0xd8,0x01,0x02,0x00,0x05]

ds_min_rtn_u32 v5, v1, v2 offset:4
// CHECK: ds_min_rtn_u32 v5, v1, v2 offset:4      ; encoding: [0x04,0x00,0x4e,0xd8,0x01,0x02,0x00,0x05]

ds_min_rtn_u32 v5, v1, v2 offset:65535
// CHECK: ds_min_rtn_u32 v5, v1, v2 offset:65535  ; encoding: [0xff,0xff,0x4e,0xd8,0x01,0x02,0x00,0x05]

ds_min_rtn_u32 v5, v1, v2 offset:65535 gds
// CHECK: ds_min_rtn_u32 v5, v1, v2 offset:65535 gds ; encoding: [0xff,0xff,0x4f,0xd8,0x01,0x02,0x00,0x05]

ds_min_rtn_u32 v5, v1, v255 offset:65535
// CHECK: ds_min_rtn_u32 v5, v1, v255 offset:65535 ; encoding: [0xff,0xff,0x4e,0xd8,0x01,0xff,0x00,0x05]

ds_min_rtn_u32 v5, v255, v2 offset:65535
// CHECK: ds_min_rtn_u32 v5, v255, v2 offset:65535 ; encoding: [0xff,0xff,0x4e,0xd8,0xff,0x02,0x00,0x05]

ds_min_rtn_u64 v[254:255], v1, v[2:3] offset:65535
// CHECK: ds_min_rtn_u64 v[254:255], v1, v[2:3] offset:65535 ; encoding: [0xff,0xff,0xce,0xd8,0x01,0x02,0x00,0xfe]

ds_min_rtn_u64 v[5:6], v1, v[254:255] offset:65535
// CHECK: ds_min_rtn_u64 v[5:6], v1, v[254:255] offset:65535 ; encoding: [0xff,0xff,0xce,0xd8,0x01,0xfe,0x00,0x05]

ds_min_rtn_u64 v[5:6], v1, v[2:3]
// CHECK: ds_min_rtn_u64 v[5:6], v1, v[2:3]       ; encoding: [0x00,0x00,0xce,0xd8,0x01,0x02,0x00,0x05]

ds_min_rtn_u64 v[5:6], v1, v[2:3] offset:0
// CHECK: ds_min_rtn_u64 v[5:6], v1, v[2:3]       ; encoding: [0x00,0x00,0xce,0xd8,0x01,0x02,0x00,0x05]

ds_min_rtn_u64 v[5:6], v1, v[2:3] offset:4
// CHECK: ds_min_rtn_u64 v[5:6], v1, v[2:3] offset:4 ; encoding: [0x04,0x00,0xce,0xd8,0x01,0x02,0x00,0x05]

ds_min_rtn_u64 v[5:6], v1, v[2:3] offset:65535
// CHECK: ds_min_rtn_u64 v[5:6], v1, v[2:3] offset:65535 ; encoding: [0xff,0xff,0xce,0xd8,0x01,0x02,0x00,0x05]

ds_min_rtn_u64 v[5:6], v1, v[2:3] offset:65535 gds
// CHECK: ds_min_rtn_u64 v[5:6], v1, v[2:3] offset:65535 gds ; encoding: [0xff,0xff,0xcf,0xd8,0x01,0x02,0x00,0x05]

ds_min_rtn_u64 v[5:6], v255, v[2:3] offset:65535
// CHECK: ds_min_rtn_u64 v[5:6], v255, v[2:3] offset:65535 ; encoding: [0xff,0xff,0xce,0xd8,0xff,0x02,0x00,0x05]

ds_min_src2_f32 v1
// CHECK: ds_min_src2_f32 v1                      ; encoding: [0x00,0x00,0x24,0xd9,0x01,0x00,0x00,0x00]

ds_min_src2_f32 v1 offset:0
// CHECK: ds_min_src2_f32 v1                      ; encoding: [0x00,0x00,0x24,0xd9,0x01,0x00,0x00,0x00]

ds_min_src2_f32 v1 offset:4
// CHECK: ds_min_src2_f32 v1 offset:4             ; encoding: [0x04,0x00,0x24,0xd9,0x01,0x00,0x00,0x00]

ds_min_src2_f32 v1 offset:65535
// CHECK: ds_min_src2_f32 v1 offset:65535         ; encoding: [0xff,0xff,0x24,0xd9,0x01,0x00,0x00,0x00]

ds_min_src2_f32 v1 offset:65535 gds
// CHECK: ds_min_src2_f32 v1 offset:65535 gds     ; encoding: [0xff,0xff,0x25,0xd9,0x01,0x00,0x00,0x00]

ds_min_src2_f32 v255 offset:65535
// CHECK: ds_min_src2_f32 v255 offset:65535       ; encoding: [0xff,0xff,0x24,0xd9,0xff,0x00,0x00,0x00]

ds_min_src2_f64 v1
// CHECK: ds_min_src2_f64 v1                      ; encoding: [0x00,0x00,0xa4,0xd9,0x01,0x00,0x00,0x00]

ds_min_src2_f64 v1 offset:0
// CHECK: ds_min_src2_f64 v1                      ; encoding: [0x00,0x00,0xa4,0xd9,0x01,0x00,0x00,0x00]

ds_min_src2_f64 v1 offset:4
// CHECK: ds_min_src2_f64 v1 offset:4             ; encoding: [0x04,0x00,0xa4,0xd9,0x01,0x00,0x00,0x00]

ds_min_src2_f64 v1 offset:65535
// CHECK: ds_min_src2_f64 v1 offset:65535         ; encoding: [0xff,0xff,0xa4,0xd9,0x01,0x00,0x00,0x00]

ds_min_src2_f64 v1 offset:65535 gds
// CHECK: ds_min_src2_f64 v1 offset:65535 gds     ; encoding: [0xff,0xff,0xa5,0xd9,0x01,0x00,0x00,0x00]

ds_min_src2_f64 v255 offset:65535
// CHECK: ds_min_src2_f64 v255 offset:65535       ; encoding: [0xff,0xff,0xa4,0xd9,0xff,0x00,0x00,0x00]

ds_min_src2_i32 v1
// CHECK: ds_min_src2_i32 v1                      ; encoding: [0x00,0x00,0x0a,0xd9,0x01,0x00,0x00,0x00]

ds_min_src2_i32 v1 offset:0
// CHECK: ds_min_src2_i32 v1                      ; encoding: [0x00,0x00,0x0a,0xd9,0x01,0x00,0x00,0x00]

ds_min_src2_i32 v1 offset:4
// CHECK: ds_min_src2_i32 v1 offset:4             ; encoding: [0x04,0x00,0x0a,0xd9,0x01,0x00,0x00,0x00]

ds_min_src2_i32 v1 offset:65535
// CHECK: ds_min_src2_i32 v1 offset:65535         ; encoding: [0xff,0xff,0x0a,0xd9,0x01,0x00,0x00,0x00]

ds_min_src2_i32 v1 offset:65535 gds
// CHECK: ds_min_src2_i32 v1 offset:65535 gds     ; encoding: [0xff,0xff,0x0b,0xd9,0x01,0x00,0x00,0x00]

ds_min_src2_i32 v255 offset:65535
// CHECK: ds_min_src2_i32 v255 offset:65535       ; encoding: [0xff,0xff,0x0a,0xd9,0xff,0x00,0x00,0x00]

ds_min_src2_i64 v1
// CHECK: ds_min_src2_i64 v1                      ; encoding: [0x00,0x00,0x8a,0xd9,0x01,0x00,0x00,0x00]

ds_min_src2_i64 v1 offset:0
// CHECK: ds_min_src2_i64 v1                      ; encoding: [0x00,0x00,0x8a,0xd9,0x01,0x00,0x00,0x00]

ds_min_src2_i64 v1 offset:4
// CHECK: ds_min_src2_i64 v1 offset:4             ; encoding: [0x04,0x00,0x8a,0xd9,0x01,0x00,0x00,0x00]

ds_min_src2_i64 v1 offset:65535
// CHECK: ds_min_src2_i64 v1 offset:65535         ; encoding: [0xff,0xff,0x8a,0xd9,0x01,0x00,0x00,0x00]

ds_min_src2_i64 v1 offset:65535 gds
// CHECK: ds_min_src2_i64 v1 offset:65535 gds     ; encoding: [0xff,0xff,0x8b,0xd9,0x01,0x00,0x00,0x00]

ds_min_src2_i64 v255 offset:65535
// CHECK: ds_min_src2_i64 v255 offset:65535       ; encoding: [0xff,0xff,0x8a,0xd9,0xff,0x00,0x00,0x00]

ds_min_src2_u32 v1
// CHECK: ds_min_src2_u32 v1                      ; encoding: [0x00,0x00,0x0e,0xd9,0x01,0x00,0x00,0x00]

ds_min_src2_u32 v1 offset:0
// CHECK: ds_min_src2_u32 v1                      ; encoding: [0x00,0x00,0x0e,0xd9,0x01,0x00,0x00,0x00]

ds_min_src2_u32 v1 offset:4
// CHECK: ds_min_src2_u32 v1 offset:4             ; encoding: [0x04,0x00,0x0e,0xd9,0x01,0x00,0x00,0x00]

ds_min_src2_u32 v1 offset:65535
// CHECK: ds_min_src2_u32 v1 offset:65535         ; encoding: [0xff,0xff,0x0e,0xd9,0x01,0x00,0x00,0x00]

ds_min_src2_u32 v1 offset:65535 gds
// CHECK: ds_min_src2_u32 v1 offset:65535 gds     ; encoding: [0xff,0xff,0x0f,0xd9,0x01,0x00,0x00,0x00]

ds_min_src2_u32 v255 offset:65535
// CHECK: ds_min_src2_u32 v255 offset:65535       ; encoding: [0xff,0xff,0x0e,0xd9,0xff,0x00,0x00,0x00]

ds_min_src2_u64 v1
// CHECK: ds_min_src2_u64 v1                      ; encoding: [0x00,0x00,0x8e,0xd9,0x01,0x00,0x00,0x00]

ds_min_src2_u64 v1 offset:0
// CHECK: ds_min_src2_u64 v1                      ; encoding: [0x00,0x00,0x8e,0xd9,0x01,0x00,0x00,0x00]

ds_min_src2_u64 v1 offset:4
// CHECK: ds_min_src2_u64 v1 offset:4             ; encoding: [0x04,0x00,0x8e,0xd9,0x01,0x00,0x00,0x00]

ds_min_src2_u64 v1 offset:65535
// CHECK: ds_min_src2_u64 v1 offset:65535         ; encoding: [0xff,0xff,0x8e,0xd9,0x01,0x00,0x00,0x00]

ds_min_src2_u64 v1 offset:65535 gds
// CHECK: ds_min_src2_u64 v1 offset:65535 gds     ; encoding: [0xff,0xff,0x8f,0xd9,0x01,0x00,0x00,0x00]

ds_min_src2_u64 v255 offset:65535
// CHECK: ds_min_src2_u64 v255 offset:65535       ; encoding: [0xff,0xff,0x8e,0xd9,0xff,0x00,0x00,0x00]

ds_min_u32 v1, v2
// CHECK: ds_min_u32 v1, v2                       ; encoding: [0x00,0x00,0x0e,0xd8,0x01,0x02,0x00,0x00]

ds_min_u32 v1, v2 offset:0
// CHECK: ds_min_u32 v1, v2                       ; encoding: [0x00,0x00,0x0e,0xd8,0x01,0x02,0x00,0x00]

ds_min_u32 v1, v2 offset:4
// CHECK: ds_min_u32 v1, v2 offset:4              ; encoding: [0x04,0x00,0x0e,0xd8,0x01,0x02,0x00,0x00]

ds_min_u32 v1, v2 offset:65535
// CHECK: ds_min_u32 v1, v2 offset:65535          ; encoding: [0xff,0xff,0x0e,0xd8,0x01,0x02,0x00,0x00]

ds_min_u32 v1, v2 offset:65535 gds
// CHECK: ds_min_u32 v1, v2 offset:65535 gds      ; encoding: [0xff,0xff,0x0f,0xd8,0x01,0x02,0x00,0x00]

ds_min_u32 v1, v255 offset:65535
// CHECK: ds_min_u32 v1, v255 offset:65535        ; encoding: [0xff,0xff,0x0e,0xd8,0x01,0xff,0x00,0x00]

ds_min_u32 v255, v2 offset:65535
// CHECK: ds_min_u32 v255, v2 offset:65535        ; encoding: [0xff,0xff,0x0e,0xd8,0xff,0x02,0x00,0x00]

ds_min_u64 v1, v[254:255] offset:65535
// CHECK: ds_min_u64 v1, v[254:255] offset:65535  ; encoding: [0xff,0xff,0x8e,0xd8,0x01,0xfe,0x00,0x00]

ds_min_u64 v1, v[2:3]
// CHECK: ds_min_u64 v1, v[2:3]                   ; encoding: [0x00,0x00,0x8e,0xd8,0x01,0x02,0x00,0x00]

ds_min_u64 v1, v[2:3] offset:0
// CHECK: ds_min_u64 v1, v[2:3]                   ; encoding: [0x00,0x00,0x8e,0xd8,0x01,0x02,0x00,0x00]

ds_min_u64 v1, v[2:3] offset:4
// CHECK: ds_min_u64 v1, v[2:3] offset:4          ; encoding: [0x04,0x00,0x8e,0xd8,0x01,0x02,0x00,0x00]

ds_min_u64 v1, v[2:3] offset:65535
// CHECK: ds_min_u64 v1, v[2:3] offset:65535      ; encoding: [0xff,0xff,0x8e,0xd8,0x01,0x02,0x00,0x00]

ds_min_u64 v1, v[2:3] offset:65535 gds
// CHECK: ds_min_u64 v1, v[2:3] offset:65535 gds  ; encoding: [0xff,0xff,0x8f,0xd8,0x01,0x02,0x00,0x00]

ds_min_u64 v255, v[2:3] offset:65535
// CHECK: ds_min_u64 v255, v[2:3] offset:65535    ; encoding: [0xff,0xff,0x8e,0xd8,0xff,0x02,0x00,0x00]

ds_mskor_b32 v1, v2, v255 offset:65535
// CHECK: ds_mskor_b32 v1, v2, v255 offset:65535  ; encoding: [0xff,0xff,0x18,0xd8,0x01,0x02,0xff,0x00]

ds_mskor_b32 v1, v2, v3
// CHECK: ds_mskor_b32 v1, v2, v3                 ; encoding: [0x00,0x00,0x18,0xd8,0x01,0x02,0x03,0x00]

ds_mskor_b32 v1, v2, v3 offset:0
// CHECK: ds_mskor_b32 v1, v2, v3                 ; encoding: [0x00,0x00,0x18,0xd8,0x01,0x02,0x03,0x00]

ds_mskor_b32 v1, v2, v3 offset:4
// CHECK: ds_mskor_b32 v1, v2, v3 offset:4        ; encoding: [0x04,0x00,0x18,0xd8,0x01,0x02,0x03,0x00]

ds_mskor_b32 v1, v2, v3 offset:65535
// CHECK: ds_mskor_b32 v1, v2, v3 offset:65535    ; encoding: [0xff,0xff,0x18,0xd8,0x01,0x02,0x03,0x00]

ds_mskor_b32 v1, v2, v3 offset:65535 gds
// CHECK: ds_mskor_b32 v1, v2, v3 offset:65535 gds ; encoding: [0xff,0xff,0x19,0xd8,0x01,0x02,0x03,0x00]

ds_mskor_b32 v1, v255, v3 offset:65535
// CHECK: ds_mskor_b32 v1, v255, v3 offset:65535  ; encoding: [0xff,0xff,0x18,0xd8,0x01,0xff,0x03,0x00]

ds_mskor_b32 v255, v2, v3 offset:65535
// CHECK: ds_mskor_b32 v255, v2, v3 offset:65535  ; encoding: [0xff,0xff,0x18,0xd8,0xff,0x02,0x03,0x00]

ds_mskor_b64 v1, v[254:255], v[3:4] offset:65535
// CHECK: ds_mskor_b64 v1, v[254:255], v[3:4] offset:65535 ; encoding: [0xff,0xff,0x98,0xd8,0x01,0xfe,0x03,0x00]

ds_mskor_b64 v1, v[2:3], v[254:255] offset:65535
// CHECK: ds_mskor_b64 v1, v[2:3], v[254:255] offset:65535 ; encoding: [0xff,0xff,0x98,0xd8,0x01,0x02,0xfe,0x00]

ds_mskor_b64 v1, v[2:3], v[3:4]
// CHECK: ds_mskor_b64 v1, v[2:3], v[3:4]         ; encoding: [0x00,0x00,0x98,0xd8,0x01,0x02,0x03,0x00]

ds_mskor_b64 v1, v[2:3], v[3:4] offset:0
// CHECK: ds_mskor_b64 v1, v[2:3], v[3:4]         ; encoding: [0x00,0x00,0x98,0xd8,0x01,0x02,0x03,0x00]

ds_mskor_b64 v1, v[2:3], v[3:4] offset:4
// CHECK: ds_mskor_b64 v1, v[2:3], v[3:4] offset:4 ; encoding: [0x04,0x00,0x98,0xd8,0x01,0x02,0x03,0x00]

ds_mskor_b64 v1, v[2:3], v[3:4] offset:65535
// CHECK: ds_mskor_b64 v1, v[2:3], v[3:4] offset:65535 ; encoding: [0xff,0xff,0x98,0xd8,0x01,0x02,0x03,0x00]

ds_mskor_b64 v1, v[2:3], v[3:4] offset:65535 gds
// CHECK: ds_mskor_b64 v1, v[2:3], v[3:4] offset:65535 gds ; encoding: [0xff,0xff,0x99,0xd8,0x01,0x02,0x03,0x00]

ds_mskor_b64 v255, v[2:3], v[3:4] offset:65535
// CHECK: ds_mskor_b64 v255, v[2:3], v[3:4] offset:65535 ; encoding: [0xff,0xff,0x98,0xd8,0xff,0x02,0x03,0x00]

ds_mskor_rtn_b32 v255, v1, v2, v3 offset:65535
// CHECK: ds_mskor_rtn_b32 v255, v1, v2, v3 offset:65535 ; encoding: [0xff,0xff,0x58,0xd8,0x01,0x02,0x03,0xff]

ds_mskor_rtn_b32 v5, v1, v2, v255 offset:65535
// CHECK: ds_mskor_rtn_b32 v5, v1, v2, v255 offset:65535 ; encoding: [0xff,0xff,0x58,0xd8,0x01,0x02,0xff,0x05]

ds_mskor_rtn_b32 v5, v1, v2, v3
// CHECK: ds_mskor_rtn_b32 v5, v1, v2, v3         ; encoding: [0x00,0x00,0x58,0xd8,0x01,0x02,0x03,0x05]

ds_mskor_rtn_b32 v5, v1, v2, v3 offset:0
// CHECK: ds_mskor_rtn_b32 v5, v1, v2, v3         ; encoding: [0x00,0x00,0x58,0xd8,0x01,0x02,0x03,0x05]

ds_mskor_rtn_b32 v5, v1, v2, v3 offset:4
// CHECK: ds_mskor_rtn_b32 v5, v1, v2, v3 offset:4 ; encoding: [0x04,0x00,0x58,0xd8,0x01,0x02,0x03,0x05]

ds_mskor_rtn_b32 v5, v1, v2, v3 offset:65535
// CHECK: ds_mskor_rtn_b32 v5, v1, v2, v3 offset:65535 ; encoding: [0xff,0xff,0x58,0xd8,0x01,0x02,0x03,0x05]

ds_mskor_rtn_b32 v5, v1, v2, v3 offset:65535 gds
// CHECK: ds_mskor_rtn_b32 v5, v1, v2, v3 offset:65535 gds ; encoding: [0xff,0xff,0x59,0xd8,0x01,0x02,0x03,0x05]

ds_mskor_rtn_b32 v5, v1, v255, v3 offset:65535
// CHECK: ds_mskor_rtn_b32 v5, v1, v255, v3 offset:65535 ; encoding: [0xff,0xff,0x58,0xd8,0x01,0xff,0x03,0x05]

ds_mskor_rtn_b32 v5, v255, v2, v3 offset:65535
// CHECK: ds_mskor_rtn_b32 v5, v255, v2, v3 offset:65535 ; encoding: [0xff,0xff,0x58,0xd8,0xff,0x02,0x03,0x05]

ds_mskor_rtn_b64 v[254:255], v1, v[2:3], v[3:4] offset:65535
// CHECK: ds_mskor_rtn_b64 v[254:255], v1, v[2:3], v[3:4] offset:65535 ; encoding: [0xff,0xff,0xd8,0xd8,0x01,0x02,0x03,0xfe]

ds_mskor_rtn_b64 v[5:6], v1, v[254:255], v[3:4] offset:65535
// CHECK: ds_mskor_rtn_b64 v[5:6], v1, v[254:255], v[3:4] offset:65535 ; encoding: [0xff,0xff,0xd8,0xd8,0x01,0xfe,0x03,0x05]
	;; [unrolled: 3-line block ×3, first 2 shown]

ds_mskor_rtn_b64 v[5:6], v1, v[2:3], v[3:4]
// CHECK: ds_mskor_rtn_b64 v[5:6], v1, v[2:3], v[3:4] ; encoding: [0x00,0x00,0xd8,0xd8,0x01,0x02,0x03,0x05]

ds_mskor_rtn_b64 v[5:6], v1, v[2:3], v[3:4] offset:0
// CHECK: ds_mskor_rtn_b64 v[5:6], v1, v[2:3], v[3:4] ; encoding: [0x00,0x00,0xd8,0xd8,0x01,0x02,0x03,0x05]

ds_mskor_rtn_b64 v[5:6], v1, v[2:3], v[3:4] offset:4
// CHECK: ds_mskor_rtn_b64 v[5:6], v1, v[2:3], v[3:4] offset:4 ; encoding: [0x04,0x00,0xd8,0xd8,0x01,0x02,0x03,0x05]

ds_mskor_rtn_b64 v[5:6], v1, v[2:3], v[3:4] offset:65535
// CHECK: ds_mskor_rtn_b64 v[5:6], v1, v[2:3], v[3:4] offset:65535 ; encoding: [0xff,0xff,0xd8,0xd8,0x01,0x02,0x03,0x05]

ds_mskor_rtn_b64 v[5:6], v1, v[2:3], v[3:4] offset:65535 gds
// CHECK: ds_mskor_rtn_b64 v[5:6], v1, v[2:3], v[3:4] offset:65535 gds ; encoding: [0xff,0xff,0xd9,0xd8,0x01,0x02,0x03,0x05]

ds_mskor_rtn_b64 v[5:6], v255, v[2:3], v[3:4] offset:65535
// CHECK: ds_mskor_rtn_b64 v[5:6], v255, v[2:3], v[3:4] offset:65535 ; encoding: [0xff,0xff,0xd8,0xd8,0xff,0x02,0x03,0x05]

ds_nop
// CHECK: ds_nop                                  ; encoding: [0x00,0x00,0x28,0xd8,0x00,0x00,0x00,0x00]

ds_or_b32 v1, v2
// CHECK: ds_or_b32 v1, v2                        ; encoding: [0x00,0x00,0x14,0xd8,0x01,0x02,0x00,0x00]

ds_or_b32 v1, v2 offset:0
// CHECK: ds_or_b32 v1, v2                        ; encoding: [0x00,0x00,0x14,0xd8,0x01,0x02,0x00,0x00]

ds_or_b32 v1, v2 offset:4
// CHECK: ds_or_b32 v1, v2 offset:4               ; encoding: [0x04,0x00,0x14,0xd8,0x01,0x02,0x00,0x00]

ds_or_b32 v1, v2 offset:65535
// CHECK: ds_or_b32 v1, v2 offset:65535           ; encoding: [0xff,0xff,0x14,0xd8,0x01,0x02,0x00,0x00]

ds_or_b32 v1, v2 offset:65535 gds
// CHECK: ds_or_b32 v1, v2 offset:65535 gds       ; encoding: [0xff,0xff,0x15,0xd8,0x01,0x02,0x00,0x00]

ds_or_b32 v1, v255 offset:65535
// CHECK: ds_or_b32 v1, v255 offset:65535         ; encoding: [0xff,0xff,0x14,0xd8,0x01,0xff,0x00,0x00]

ds_or_b32 v255, v2 offset:65535
// CHECK: ds_or_b32 v255, v2 offset:65535         ; encoding: [0xff,0xff,0x14,0xd8,0xff,0x02,0x00,0x00]

ds_or_b64 v1, v[254:255] offset:65535
// CHECK: ds_or_b64 v1, v[254:255] offset:65535   ; encoding: [0xff,0xff,0x94,0xd8,0x01,0xfe,0x00,0x00]

ds_or_b64 v1, v[2:3]
// CHECK: ds_or_b64 v1, v[2:3]                    ; encoding: [0x00,0x00,0x94,0xd8,0x01,0x02,0x00,0x00]

ds_or_b64 v1, v[2:3] offset:0
// CHECK: ds_or_b64 v1, v[2:3]                    ; encoding: [0x00,0x00,0x94,0xd8,0x01,0x02,0x00,0x00]

ds_or_b64 v1, v[2:3] offset:4
// CHECK: ds_or_b64 v1, v[2:3] offset:4           ; encoding: [0x04,0x00,0x94,0xd8,0x01,0x02,0x00,0x00]

ds_or_b64 v1, v[2:3] offset:65535
// CHECK: ds_or_b64 v1, v[2:3] offset:65535       ; encoding: [0xff,0xff,0x94,0xd8,0x01,0x02,0x00,0x00]

ds_or_b64 v1, v[2:3] offset:65535 gds
// CHECK: ds_or_b64 v1, v[2:3] offset:65535 gds   ; encoding: [0xff,0xff,0x95,0xd8,0x01,0x02,0x00,0x00]

ds_or_b64 v255, v[2:3] offset:65535
// CHECK: ds_or_b64 v255, v[2:3] offset:65535     ; encoding: [0xff,0xff,0x94,0xd8,0xff,0x02,0x00,0x00]

ds_or_rtn_b32 v255, v1, v2 offset:65535
// CHECK: ds_or_rtn_b32 v255, v1, v2 offset:65535 ; encoding: [0xff,0xff,0x54,0xd8,0x01,0x02,0x00,0xff]

ds_or_rtn_b32 v5, v1, v2
// CHECK: ds_or_rtn_b32 v5, v1, v2                ; encoding: [0x00,0x00,0x54,0xd8,0x01,0x02,0x00,0x05]

ds_or_rtn_b32 v5, v1, v2 offset:0
// CHECK: ds_or_rtn_b32 v5, v1, v2                ; encoding: [0x00,0x00,0x54,0xd8,0x01,0x02,0x00,0x05]

ds_or_rtn_b32 v5, v1, v2 offset:4
// CHECK: ds_or_rtn_b32 v5, v1, v2 offset:4       ; encoding: [0x04,0x00,0x54,0xd8,0x01,0x02,0x00,0x05]

ds_or_rtn_b32 v5, v1, v2 offset:65535
// CHECK: ds_or_rtn_b32 v5, v1, v2 offset:65535   ; encoding: [0xff,0xff,0x54,0xd8,0x01,0x02,0x00,0x05]

ds_or_rtn_b32 v5, v1, v2 offset:65535 gds
// CHECK: ds_or_rtn_b32 v5, v1, v2 offset:65535 gds ; encoding: [0xff,0xff,0x55,0xd8,0x01,0x02,0x00,0x05]

ds_or_rtn_b32 v5, v1, v255 offset:65535
// CHECK: ds_or_rtn_b32 v5, v1, v255 offset:65535 ; encoding: [0xff,0xff,0x54,0xd8,0x01,0xff,0x00,0x05]

ds_or_rtn_b32 v5, v255, v2 offset:65535
// CHECK: ds_or_rtn_b32 v5, v255, v2 offset:65535 ; encoding: [0xff,0xff,0x54,0xd8,0xff,0x02,0x00,0x05]

ds_or_rtn_b64 v[254:255], v1, v[2:3] offset:65535
// CHECK: ds_or_rtn_b64 v[254:255], v1, v[2:3] offset:65535 ; encoding: [0xff,0xff,0xd4,0xd8,0x01,0x02,0x00,0xfe]

ds_or_rtn_b64 v[5:6], v1, v[254:255] offset:65535
// CHECK: ds_or_rtn_b64 v[5:6], v1, v[254:255] offset:65535 ; encoding: [0xff,0xff,0xd4,0xd8,0x01,0xfe,0x00,0x05]

ds_or_rtn_b64 v[5:6], v1, v[2:3]
// CHECK: ds_or_rtn_b64 v[5:6], v1, v[2:3]        ; encoding: [0x00,0x00,0xd4,0xd8,0x01,0x02,0x00,0x05]

ds_or_rtn_b64 v[5:6], v1, v[2:3] offset:0
// CHECK: ds_or_rtn_b64 v[5:6], v1, v[2:3]        ; encoding: [0x00,0x00,0xd4,0xd8,0x01,0x02,0x00,0x05]

ds_or_rtn_b64 v[5:6], v1, v[2:3] offset:4
// CHECK: ds_or_rtn_b64 v[5:6], v1, v[2:3] offset:4 ; encoding: [0x04,0x00,0xd4,0xd8,0x01,0x02,0x00,0x05]

ds_or_rtn_b64 v[5:6], v1, v[2:3] offset:65535
// CHECK: ds_or_rtn_b64 v[5:6], v1, v[2:3] offset:65535 ; encoding: [0xff,0xff,0xd4,0xd8,0x01,0x02,0x00,0x05]

ds_or_rtn_b64 v[5:6], v1, v[2:3] offset:65535 gds
// CHECK: ds_or_rtn_b64 v[5:6], v1, v[2:3] offset:65535 gds ; encoding: [0xff,0xff,0xd5,0xd8,0x01,0x02,0x00,0x05]

ds_or_rtn_b64 v[5:6], v255, v[2:3] offset:65535
// CHECK: ds_or_rtn_b64 v[5:6], v255, v[2:3] offset:65535 ; encoding: [0xff,0xff,0xd4,0xd8,0xff,0x02,0x00,0x05]

ds_or_src2_b32 v1
// CHECK: ds_or_src2_b32 v1                       ; encoding: [0x00,0x00,0x14,0xd9,0x01,0x00,0x00,0x00]

ds_or_src2_b32 v1 offset:0
// CHECK: ds_or_src2_b32 v1                       ; encoding: [0x00,0x00,0x14,0xd9,0x01,0x00,0x00,0x00]

ds_or_src2_b32 v1 offset:4
// CHECK: ds_or_src2_b32 v1 offset:4              ; encoding: [0x04,0x00,0x14,0xd9,0x01,0x00,0x00,0x00]

ds_or_src2_b32 v1 offset:65535
// CHECK: ds_or_src2_b32 v1 offset:65535          ; encoding: [0xff,0xff,0x14,0xd9,0x01,0x00,0x00,0x00]

ds_or_src2_b32 v1 offset:65535 gds
// CHECK: ds_or_src2_b32 v1 offset:65535 gds      ; encoding: [0xff,0xff,0x15,0xd9,0x01,0x00,0x00,0x00]

ds_or_src2_b32 v255 offset:65535
// CHECK: ds_or_src2_b32 v255 offset:65535        ; encoding: [0xff,0xff,0x14,0xd9,0xff,0x00,0x00,0x00]

ds_or_src2_b64 v1
// CHECK: ds_or_src2_b64 v1                       ; encoding: [0x00,0x00,0x94,0xd9,0x01,0x00,0x00,0x00]

ds_or_src2_b64 v1 offset:0
// CHECK: ds_or_src2_b64 v1                       ; encoding: [0x00,0x00,0x94,0xd9,0x01,0x00,0x00,0x00]

ds_or_src2_b64 v1 offset:4
// CHECK: ds_or_src2_b64 v1 offset:4              ; encoding: [0x04,0x00,0x94,0xd9,0x01,0x00,0x00,0x00]

ds_or_src2_b64 v1 offset:65535
// CHECK: ds_or_src2_b64 v1 offset:65535          ; encoding: [0xff,0xff,0x94,0xd9,0x01,0x00,0x00,0x00]

ds_or_src2_b64 v1 offset:65535 gds
// CHECK: ds_or_src2_b64 v1 offset:65535 gds      ; encoding: [0xff,0xff,0x95,0xd9,0x01,0x00,0x00,0x00]

ds_or_src2_b64 v255 offset:65535
// CHECK: ds_or_src2_b64 v255 offset:65535        ; encoding: [0xff,0xff,0x94,0xd9,0xff,0x00,0x00,0x00]

ds_ordered_count v255, v1 offset:65535 gds
// CHECK: ds_ordered_count v255, v1 offset:65535 gds ; encoding: [0xff,0xff,0x7f,0xd9,0x01,0x00,0x00,0xff]

ds_ordered_count v5, v1 gds
// CHECK: ds_ordered_count v5, v1 gds             ; encoding: [0x00,0x00,0x7f,0xd9,0x01,0x00,0x00,0x05]

ds_ordered_count v5, v1 offset:0 gds
// CHECK: ds_ordered_count v5, v1 gds             ; encoding: [0x00,0x00,0x7f,0xd9,0x01,0x00,0x00,0x05]

ds_ordered_count v5, v1 offset:4 gds
// CHECK: ds_ordered_count v5, v1 offset:4 gds    ; encoding: [0x04,0x00,0x7f,0xd9,0x01,0x00,0x00,0x05]

ds_ordered_count v5, v1 offset:65535 gds
// CHECK: ds_ordered_count v5, v1 offset:65535 gds ; encoding: [0xff,0xff,0x7f,0xd9,0x01,0x00,0x00,0x05]

ds_ordered_count v5, v255 offset:65535 gds
// CHECK: ds_ordered_count v5, v255 offset:65535 gds ; encoding: [0xff,0xff,0x7f,0xd9,0xff,0x00,0x00,0x05]

ds_permute_b32 v255, v1, v2 offset:65535
// CHECK: ds_permute_b32 v255, v1, v2 offset:65535 ; encoding: [0xff,0xff,0x7c,0xd8,0x01,0x02,0x00,0xff]

ds_permute_b32 v5, v1, v2
// CHECK: ds_permute_b32 v5, v1, v2               ; encoding: [0x00,0x00,0x7c,0xd8,0x01,0x02,0x00,0x05]

ds_permute_b32 v5, v1, v2 offset:0
// CHECK: ds_permute_b32 v5, v1, v2               ; encoding: [0x00,0x00,0x7c,0xd8,0x01,0x02,0x00,0x05]

ds_permute_b32 v5, v1, v2 offset:4
// CHECK: ds_permute_b32 v5, v1, v2 offset:4      ; encoding: [0x04,0x00,0x7c,0xd8,0x01,0x02,0x00,0x05]

ds_permute_b32 v5, v1, v2 offset:65535
// CHECK: ds_permute_b32 v5, v1, v2 offset:65535  ; encoding: [0xff,0xff,0x7c,0xd8,0x01,0x02,0x00,0x05]

ds_permute_b32 v5, v1, v255 offset:65535
// CHECK: ds_permute_b32 v5, v1, v255 offset:65535 ; encoding: [0xff,0xff,0x7c,0xd8,0x01,0xff,0x00,0x05]

ds_permute_b32 v5, v255, v2 offset:65535
// CHECK: ds_permute_b32 v5, v255, v2 offset:65535 ; encoding: [0xff,0xff,0x7c,0xd8,0xff,0x02,0x00,0x05]

ds_read2_b32 v[254:255], v1 offset0:127 offset1:255
// CHECK: ds_read2_b32 v[254:255], v1 offset0:127 offset1:255 ; encoding: [0x7f,0xff,0x6e,0xd8,0x01,0x00,0x00,0xfe]

ds_read2_b32 v[5:6], v1 offset0:0 offset1:255
// CHECK: ds_read2_b32 v[5:6], v1 offset1:255     ; encoding: [0x00,0xff,0x6e,0xd8,0x01,0x00,0x00,0x05]

ds_read2_b32 v[5:6], v1 offset0:127
// CHECK: ds_read2_b32 v[5:6], v1 offset0:127     ; encoding: [0x7f,0x00,0x6e,0xd8,0x01,0x00,0x00,0x05]

ds_read2_b32 v[5:6], v1 offset0:127 offset1:0
// CHECK: ds_read2_b32 v[5:6], v1 offset0:127     ; encoding: [0x7f,0x00,0x6e,0xd8,0x01,0x00,0x00,0x05]

ds_read2_b32 v[5:6], v1 offset0:127 offset1:1
// CHECK: ds_read2_b32 v[5:6], v1 offset0:127 offset1:1 ; encoding: [0x7f,0x01,0x6e,0xd8,0x01,0x00,0x00,0x05]

ds_read2_b32 v[5:6], v1 offset0:127 offset1:255
// CHECK: ds_read2_b32 v[5:6], v1 offset0:127 offset1:255 ; encoding: [0x7f,0xff,0x6e,0xd8,0x01,0x00,0x00,0x05]

ds_read2_b32 v[5:6], v1 offset0:127 offset1:255 gds
// CHECK: ds_read2_b32 v[5:6], v1 offset0:127 offset1:255 gds ; encoding: [0x7f,0xff,0x6f,0xd8,0x01,0x00,0x00,0x05]

ds_read2_b32 v[5:6], v1 offset0:16 offset1:255
// CHECK: ds_read2_b32 v[5:6], v1 offset0:16 offset1:255 ; encoding: [0x10,0xff,0x6e,0xd8,0x01,0x00,0x00,0x05]

ds_read2_b32 v[5:6], v1 offset1:255
// CHECK: ds_read2_b32 v[5:6], v1 offset1:255     ; encoding: [0x00,0xff,0x6e,0xd8,0x01,0x00,0x00,0x05]

ds_read2_b32 v[5:6], v255 offset0:127 offset1:255
// CHECK: ds_read2_b32 v[5:6], v255 offset0:127 offset1:255 ; encoding: [0x7f,0xff,0x6e,0xd8,0xff,0x00,0x00,0x05]

ds_read2_b64 v[252:255], v1 offset0:127 offset1:255
// CHECK: ds_read2_b64 v[252:255], v1 offset0:127 offset1:255 ; encoding: [0x7f,0xff,0xee,0xd8,0x01,0x00,0x00,0xfc]

ds_read2_b64 v[5:8], v1 offset0:0 offset1:255
// CHECK: ds_read2_b64 v[5:8], v1 offset1:255     ; encoding: [0x00,0xff,0xee,0xd8,0x01,0x00,0x00,0x05]

ds_read2_b64 v[5:8], v1 offset0:127
// CHECK: ds_read2_b64 v[5:8], v1 offset0:127     ; encoding: [0x7f,0x00,0xee,0xd8,0x01,0x00,0x00,0x05]

ds_read2_b64 v[5:8], v1 offset0:127 offset1:0
// CHECK: ds_read2_b64 v[5:8], v1 offset0:127     ; encoding: [0x7f,0x00,0xee,0xd8,0x01,0x00,0x00,0x05]

ds_read2_b64 v[5:8], v1 offset0:127 offset1:1
// CHECK: ds_read2_b64 v[5:8], v1 offset0:127 offset1:1 ; encoding: [0x7f,0x01,0xee,0xd8,0x01,0x00,0x00,0x05]

ds_read2_b64 v[5:8], v1 offset0:127 offset1:255
// CHECK: ds_read2_b64 v[5:8], v1 offset0:127 offset1:255 ; encoding: [0x7f,0xff,0xee,0xd8,0x01,0x00,0x00,0x05]

ds_read2_b64 v[5:8], v1 offset0:127 offset1:255 gds
// CHECK: ds_read2_b64 v[5:8], v1 offset0:127 offset1:255 gds ; encoding: [0x7f,0xff,0xef,0xd8,0x01,0x00,0x00,0x05]

ds_read2_b64 v[5:8], v1 offset0:16 offset1:255
// CHECK: ds_read2_b64 v[5:8], v1 offset0:16 offset1:255 ; encoding: [0x10,0xff,0xee,0xd8,0x01,0x00,0x00,0x05]

ds_read2_b64 v[5:8], v1 offset1:255
// CHECK: ds_read2_b64 v[5:8], v1 offset1:255     ; encoding: [0x00,0xff,0xee,0xd8,0x01,0x00,0x00,0x05]

ds_read2_b64 v[5:8], v255 offset0:127 offset1:255
// CHECK: ds_read2_b64 v[5:8], v255 offset0:127 offset1:255 ; encoding: [0x7f,0xff,0xee,0xd8,0xff,0x00,0x00,0x05]

ds_read2st64_b32 v[254:255], v1 offset0:127 offset1:255
// CHECK: ds_read2st64_b32 v[254:255], v1 offset0:127 offset1:255 ; encoding: [0x7f,0xff,0x70,0xd8,0x01,0x00,0x00,0xfe]

ds_read2st64_b32 v[5:6], v1 offset0:0 offset1:255
// CHECK: ds_read2st64_b32 v[5:6], v1 offset1:255 ; encoding: [0x00,0xff,0x70,0xd8,0x01,0x00,0x00,0x05]

ds_read2st64_b32 v[5:6], v1 offset0:127
// CHECK: ds_read2st64_b32 v[5:6], v1 offset0:127 ; encoding: [0x7f,0x00,0x70,0xd8,0x01,0x00,0x00,0x05]

ds_read2st64_b32 v[5:6], v1 offset0:127 offset1:0
// CHECK: ds_read2st64_b32 v[5:6], v1 offset0:127 ; encoding: [0x7f,0x00,0x70,0xd8,0x01,0x00,0x00,0x05]

ds_read2st64_b32 v[5:6], v1 offset0:127 offset1:1
// CHECK: ds_read2st64_b32 v[5:6], v1 offset0:127 offset1:1 ; encoding: [0x7f,0x01,0x70,0xd8,0x01,0x00,0x00,0x05]

ds_read2st64_b32 v[5:6], v1 offset0:127 offset1:255
// CHECK: ds_read2st64_b32 v[5:6], v1 offset0:127 offset1:255 ; encoding: [0x7f,0xff,0x70,0xd8,0x01,0x00,0x00,0x05]

ds_read2st64_b32 v[5:6], v1 offset0:127 offset1:255 gds
// CHECK: ds_read2st64_b32 v[5:6], v1 offset0:127 offset1:255 gds ; encoding: [0x7f,0xff,0x71,0xd8,0x01,0x00,0x00,0x05]

ds_read2st64_b32 v[5:6], v1 offset0:16 offset1:255
// CHECK: ds_read2st64_b32 v[5:6], v1 offset0:16 offset1:255 ; encoding: [0x10,0xff,0x70,0xd8,0x01,0x00,0x00,0x05]

ds_read2st64_b32 v[5:6], v1 offset1:255
// CHECK: ds_read2st64_b32 v[5:6], v1 offset1:255 ; encoding: [0x00,0xff,0x70,0xd8,0x01,0x00,0x00,0x05]

ds_read2st64_b32 v[5:6], v255 offset0:127 offset1:255
// CHECK: ds_read2st64_b32 v[5:6], v255 offset0:127 offset1:255 ; encoding: [0x7f,0xff,0x70,0xd8,0xff,0x00,0x00,0x05]

ds_read2st64_b64 v[252:255], v1 offset0:127 offset1:255
// CHECK: ds_read2st64_b64 v[252:255], v1 offset0:127 offset1:255 ; encoding: [0x7f,0xff,0xf0,0xd8,0x01,0x00,0x00,0xfc]

ds_read2st64_b64 v[5:8], v1 offset0:0 offset1:255
// CHECK: ds_read2st64_b64 v[5:8], v1 offset1:255 ; encoding: [0x00,0xff,0xf0,0xd8,0x01,0x00,0x00,0x05]

ds_read2st64_b64 v[5:8], v1 offset0:127
// CHECK: ds_read2st64_b64 v[5:8], v1 offset0:127 ; encoding: [0x7f,0x00,0xf0,0xd8,0x01,0x00,0x00,0x05]

ds_read2st64_b64 v[5:8], v1 offset0:127 offset1:0
// CHECK: ds_read2st64_b64 v[5:8], v1 offset0:127 ; encoding: [0x7f,0x00,0xf0,0xd8,0x01,0x00,0x00,0x05]

ds_read2st64_b64 v[5:8], v1 offset0:127 offset1:1
// CHECK: ds_read2st64_b64 v[5:8], v1 offset0:127 offset1:1 ; encoding: [0x7f,0x01,0xf0,0xd8,0x01,0x00,0x00,0x05]

ds_read2st64_b64 v[5:8], v1 offset0:127 offset1:255
// CHECK: ds_read2st64_b64 v[5:8], v1 offset0:127 offset1:255 ; encoding: [0x7f,0xff,0xf0,0xd8,0x01,0x00,0x00,0x05]

ds_read2st64_b64 v[5:8], v1 offset0:127 offset1:255 gds
// CHECK: ds_read2st64_b64 v[5:8], v1 offset0:127 offset1:255 gds ; encoding: [0x7f,0xff,0xf1,0xd8,0x01,0x00,0x00,0x05]

ds_read2st64_b64 v[5:8], v1 offset0:16 offset1:255
// CHECK: ds_read2st64_b64 v[5:8], v1 offset0:16 offset1:255 ; encoding: [0x10,0xff,0xf0,0xd8,0x01,0x00,0x00,0x05]

ds_read2st64_b64 v[5:8], v1 offset1:255
// CHECK: ds_read2st64_b64 v[5:8], v1 offset1:255 ; encoding: [0x00,0xff,0xf0,0xd8,0x01,0x00,0x00,0x05]

ds_read2st64_b64 v[5:8], v255 offset0:127 offset1:255
// CHECK: ds_read2st64_b64 v[5:8], v255 offset0:127 offset1:255 ; encoding: [0x7f,0xff,0xf0,0xd8,0xff,0x00,0x00,0x05]

ds_read_addtid_b32 v255 offset:65535
// CHECK: ds_read_addtid_b32 v255 offset:65535    ; encoding: [0xff,0xff,0x6c,0xd9,0x00,0x00,0x00,0xff]

ds_read_addtid_b32 v5
// CHECK: ds_read_addtid_b32 v5                   ; encoding: [0x00,0x00,0x6c,0xd9,0x00,0x00,0x00,0x05]

ds_read_addtid_b32 v5 offset:0
// CHECK: ds_read_addtid_b32 v5                   ; encoding: [0x00,0x00,0x6c,0xd9,0x00,0x00,0x00,0x05]

ds_read_addtid_b32 v5 offset:4
// CHECK: ds_read_addtid_b32 v5 offset:4          ; encoding: [0x04,0x00,0x6c,0xd9,0x00,0x00,0x00,0x05]

ds_read_addtid_b32 v5 offset:65535
// CHECK: ds_read_addtid_b32 v5 offset:65535      ; encoding: [0xff,0xff,0x6c,0xd9,0x00,0x00,0x00,0x05]

ds_read_addtid_b32 v5 offset:65535 gds
// CHECK: ds_read_addtid_b32 v5 offset:65535 gds  ; encoding: [0xff,0xff,0x6d,0xd9,0x00,0x00,0x00,0x05]

ds_read_b128 v[252:255], v1 offset:65535
// CHECK: ds_read_b128 v[252:255], v1 offset:65535 ; encoding: [0xff,0xff,0xfe,0xd9,0x01,0x00,0x00,0xfc]

ds_read_b128 v[5:8], v1
// CHECK: ds_read_b128 v[5:8], v1                 ; encoding: [0x00,0x00,0xfe,0xd9,0x01,0x00,0x00,0x05]

ds_read_b128 v[5:8], v1 offset:0
// CHECK: ds_read_b128 v[5:8], v1                 ; encoding: [0x00,0x00,0xfe,0xd9,0x01,0x00,0x00,0x05]

ds_read_b128 v[5:8], v1 offset:4
// CHECK: ds_read_b128 v[5:8], v1 offset:4        ; encoding: [0x04,0x00,0xfe,0xd9,0x01,0x00,0x00,0x05]

ds_read_b128 v[5:8], v1 offset:65535
// CHECK: ds_read_b128 v[5:8], v1 offset:65535    ; encoding: [0xff,0xff,0xfe,0xd9,0x01,0x00,0x00,0x05]

ds_read_b128 v[5:8], v1 offset:65535 gds
// CHECK: ds_read_b128 v[5:8], v1 offset:65535 gds ; encoding: [0xff,0xff,0xff,0xd9,0x01,0x00,0x00,0x05]

ds_read_b128 v[5:8], v255 offset:65535
// CHECK: ds_read_b128 v[5:8], v255 offset:65535  ; encoding: [0xff,0xff,0xfe,0xd9,0xff,0x00,0x00,0x05]

ds_read_b32 v255, v1 offset:65535
// CHECK: ds_read_b32 v255, v1 offset:65535       ; encoding: [0xff,0xff,0x6c,0xd8,0x01,0x00,0x00,0xff]

ds_read_b32 v5, v1
// CHECK: ds_read_b32 v5, v1                      ; encoding: [0x00,0x00,0x6c,0xd8,0x01,0x00,0x00,0x05]

ds_read_b32 v5, v1 offset:0
// CHECK: ds_read_b32 v5, v1                      ; encoding: [0x00,0x00,0x6c,0xd8,0x01,0x00,0x00,0x05]

ds_read_b32 v5, v1 offset:4
// CHECK: ds_read_b32 v5, v1 offset:4             ; encoding: [0x04,0x00,0x6c,0xd8,0x01,0x00,0x00,0x05]

ds_read_b32 v5, v1 offset:65535
// CHECK: ds_read_b32 v5, v1 offset:65535         ; encoding: [0xff,0xff,0x6c,0xd8,0x01,0x00,0x00,0x05]

ds_read_b32 v5, v1 offset:65535 gds
// CHECK: ds_read_b32 v5, v1 offset:65535 gds     ; encoding: [0xff,0xff,0x6d,0xd8,0x01,0x00,0x00,0x05]

ds_read_b32 v5, v255 offset:65535
// CHECK: ds_read_b32 v5, v255 offset:65535       ; encoding: [0xff,0xff,0x6c,0xd8,0xff,0x00,0x00,0x05]

ds_read_b64 v[254:255], v1 offset:65535
// CHECK: ds_read_b64 v[254:255], v1 offset:65535 ; encoding: [0xff,0xff,0xec,0xd8,0x01,0x00,0x00,0xfe]

ds_read_b64 v[5:6], v1
// CHECK: ds_read_b64 v[5:6], v1                  ; encoding: [0x00,0x00,0xec,0xd8,0x01,0x00,0x00,0x05]

ds_read_b64 v[5:6], v1 offset:0
// CHECK: ds_read_b64 v[5:6], v1                  ; encoding: [0x00,0x00,0xec,0xd8,0x01,0x00,0x00,0x05]

ds_read_b64 v[5:6], v1 offset:4
// CHECK: ds_read_b64 v[5:6], v1 offset:4         ; encoding: [0x04,0x00,0xec,0xd8,0x01,0x00,0x00,0x05]

ds_read_b64 v[5:6], v1 offset:65535
// CHECK: ds_read_b64 v[5:6], v1 offset:65535     ; encoding: [0xff,0xff,0xec,0xd8,0x01,0x00,0x00,0x05]

ds_read_b64 v[5:6], v1 offset:65535 gds
// CHECK: ds_read_b64 v[5:6], v1 offset:65535 gds ; encoding: [0xff,0xff,0xed,0xd8,0x01,0x00,0x00,0x05]

ds_read_b64 v[5:6], v255 offset:65535
// CHECK: ds_read_b64 v[5:6], v255 offset:65535   ; encoding: [0xff,0xff,0xec,0xd8,0xff,0x00,0x00,0x05]

ds_read_b96 v[253:255], v1 offset:65535
// CHECK: ds_read_b96 v[253:255], v1 offset:65535 ; encoding: [0xff,0xff,0xfc,0xd9,0x01,0x00,0x00,0xfd]

ds_read_b96 v[5:7], v1
// CHECK: ds_read_b96 v[5:7], v1                  ; encoding: [0x00,0x00,0xfc,0xd9,0x01,0x00,0x00,0x05]

ds_read_b96 v[5:7], v1 offset:0
// CHECK: ds_read_b96 v[5:7], v1                  ; encoding: [0x00,0x00,0xfc,0xd9,0x01,0x00,0x00,0x05]

ds_read_b96 v[5:7], v1 offset:4
// CHECK: ds_read_b96 v[5:7], v1 offset:4         ; encoding: [0x04,0x00,0xfc,0xd9,0x01,0x00,0x00,0x05]

ds_read_b96 v[5:7], v1 offset:65535
// CHECK: ds_read_b96 v[5:7], v1 offset:65535     ; encoding: [0xff,0xff,0xfc,0xd9,0x01,0x00,0x00,0x05]

ds_read_b96 v[5:7], v1 offset:65535 gds
// CHECK: ds_read_b96 v[5:7], v1 offset:65535 gds ; encoding: [0xff,0xff,0xfd,0xd9,0x01,0x00,0x00,0x05]

ds_read_b96 v[5:7], v255 offset:65535
// CHECK: ds_read_b96 v[5:7], v255 offset:65535   ; encoding: [0xff,0xff,0xfc,0xd9,0xff,0x00,0x00,0x05]

ds_read_i16 v255, v1 offset:65535
// CHECK: ds_read_i16 v255, v1 offset:65535       ; encoding: [0xff,0xff,0x76,0xd8,0x01,0x00,0x00,0xff]

ds_read_i16 v5, v1
// CHECK: ds_read_i16 v5, v1                      ; encoding: [0x00,0x00,0x76,0xd8,0x01,0x00,0x00,0x05]

ds_read_i16 v5, v1 offset:0
// CHECK: ds_read_i16 v5, v1                      ; encoding: [0x00,0x00,0x76,0xd8,0x01,0x00,0x00,0x05]

ds_read_i16 v5, v1 offset:4
// CHECK: ds_read_i16 v5, v1 offset:4             ; encoding: [0x04,0x00,0x76,0xd8,0x01,0x00,0x00,0x05]

ds_read_i16 v5, v1 offset:65535
// CHECK: ds_read_i16 v5, v1 offset:65535         ; encoding: [0xff,0xff,0x76,0xd8,0x01,0x00,0x00,0x05]

ds_read_i16 v5, v1 offset:65535 gds
// CHECK: ds_read_i16 v5, v1 offset:65535 gds     ; encoding: [0xff,0xff,0x77,0xd8,0x01,0x00,0x00,0x05]

ds_read_i16 v5, v255 offset:65535
// CHECK: ds_read_i16 v5, v255 offset:65535       ; encoding: [0xff,0xff,0x76,0xd8,0xff,0x00,0x00,0x05]

ds_read_i8 v255, v1 offset:65535
// CHECK: ds_read_i8 v255, v1 offset:65535        ; encoding: [0xff,0xff,0x72,0xd8,0x01,0x00,0x00,0xff]

ds_read_i8 v5, v1
// CHECK: ds_read_i8 v5, v1                       ; encoding: [0x00,0x00,0x72,0xd8,0x01,0x00,0x00,0x05]

ds_read_i8 v5, v1 offset:0
// CHECK: ds_read_i8 v5, v1                       ; encoding: [0x00,0x00,0x72,0xd8,0x01,0x00,0x00,0x05]

ds_read_i8 v5, v1 offset:4
// CHECK: ds_read_i8 v5, v1 offset:4              ; encoding: [0x04,0x00,0x72,0xd8,0x01,0x00,0x00,0x05]

ds_read_i8 v5, v1 offset:65535
// CHECK: ds_read_i8 v5, v1 offset:65535          ; encoding: [0xff,0xff,0x72,0xd8,0x01,0x00,0x00,0x05]

ds_read_i8 v5, v1 offset:65535 gds
// CHECK: ds_read_i8 v5, v1 offset:65535 gds      ; encoding: [0xff,0xff,0x73,0xd8,0x01,0x00,0x00,0x05]

ds_read_i8 v5, v255 offset:65535
// CHECK: ds_read_i8 v5, v255 offset:65535        ; encoding: [0xff,0xff,0x72,0xd8,0xff,0x00,0x00,0x05]

ds_read_i8_d16 v255, v1 offset:65535
// CHECK: ds_read_i8_d16 v255, v1 offset:65535    ; encoding: [0xff,0xff,0xb0,0xd8,0x01,0x00,0x00,0xff]

ds_read_i8_d16 v5, v1
// CHECK: ds_read_i8_d16 v5, v1                   ; encoding: [0x00,0x00,0xb0,0xd8,0x01,0x00,0x00,0x05]

ds_read_i8_d16 v5, v1 offset:0
// CHECK: ds_read_i8_d16 v5, v1                   ; encoding: [0x00,0x00,0xb0,0xd8,0x01,0x00,0x00,0x05]

ds_read_i8_d16 v5, v1 offset:4
// CHECK: ds_read_i8_d16 v5, v1 offset:4          ; encoding: [0x04,0x00,0xb0,0xd8,0x01,0x00,0x00,0x05]

ds_read_i8_d16 v5, v1 offset:65535
// CHECK: ds_read_i8_d16 v5, v1 offset:65535      ; encoding: [0xff,0xff,0xb0,0xd8,0x01,0x00,0x00,0x05]

ds_read_i8_d16 v5, v1 offset:65535 gds
// CHECK: ds_read_i8_d16 v5, v1 offset:65535 gds  ; encoding: [0xff,0xff,0xb1,0xd8,0x01,0x00,0x00,0x05]

ds_read_i8_d16 v5, v255 offset:65535
// CHECK: ds_read_i8_d16 v5, v255 offset:65535    ; encoding: [0xff,0xff,0xb0,0xd8,0xff,0x00,0x00,0x05]

ds_read_i8_d16_hi v255, v1 offset:65535
// CHECK: ds_read_i8_d16_hi v255, v1 offset:65535 ; encoding: [0xff,0xff,0xb2,0xd8,0x01,0x00,0x00,0xff]

ds_read_i8_d16_hi v5, v1
// CHECK: ds_read_i8_d16_hi v5, v1                ; encoding: [0x00,0x00,0xb2,0xd8,0x01,0x00,0x00,0x05]

ds_read_i8_d16_hi v5, v1 offset:0
// CHECK: ds_read_i8_d16_hi v5, v1                ; encoding: [0x00,0x00,0xb2,0xd8,0x01,0x00,0x00,0x05]

ds_read_i8_d16_hi v5, v1 offset:4
// CHECK: ds_read_i8_d16_hi v5, v1 offset:4       ; encoding: [0x04,0x00,0xb2,0xd8,0x01,0x00,0x00,0x05]

ds_read_i8_d16_hi v5, v1 offset:65535
// CHECK: ds_read_i8_d16_hi v5, v1 offset:65535   ; encoding: [0xff,0xff,0xb2,0xd8,0x01,0x00,0x00,0x05]

ds_read_i8_d16_hi v5, v1 offset:65535 gds
// CHECK: ds_read_i8_d16_hi v5, v1 offset:65535 gds ; encoding: [0xff,0xff,0xb3,0xd8,0x01,0x00,0x00,0x05]

ds_read_i8_d16_hi v5, v255 offset:65535
// CHECK: ds_read_i8_d16_hi v5, v255 offset:65535 ; encoding: [0xff,0xff,0xb2,0xd8,0xff,0x00,0x00,0x05]

ds_read_u16 v255, v1 offset:65535
// CHECK: ds_read_u16 v255, v1 offset:65535       ; encoding: [0xff,0xff,0x78,0xd8,0x01,0x00,0x00,0xff]

ds_read_u16 v5, v1
// CHECK: ds_read_u16 v5, v1                      ; encoding: [0x00,0x00,0x78,0xd8,0x01,0x00,0x00,0x05]

ds_read_u16 v5, v1 offset:0
// CHECK: ds_read_u16 v5, v1                      ; encoding: [0x00,0x00,0x78,0xd8,0x01,0x00,0x00,0x05]

ds_read_u16 v5, v1 offset:4
// CHECK: ds_read_u16 v5, v1 offset:4             ; encoding: [0x04,0x00,0x78,0xd8,0x01,0x00,0x00,0x05]

ds_read_u16 v5, v1 offset:65535
// CHECK: ds_read_u16 v5, v1 offset:65535         ; encoding: [0xff,0xff,0x78,0xd8,0x01,0x00,0x00,0x05]

ds_read_u16 v5, v1 offset:65535 gds
// CHECK: ds_read_u16 v5, v1 offset:65535 gds     ; encoding: [0xff,0xff,0x79,0xd8,0x01,0x00,0x00,0x05]

ds_read_u16 v5, v255 offset:65535
// CHECK: ds_read_u16 v5, v255 offset:65535       ; encoding: [0xff,0xff,0x78,0xd8,0xff,0x00,0x00,0x05]

ds_read_u16_d16 v255, v1 offset:65535
// CHECK: ds_read_u16_d16 v255, v1 offset:65535   ; encoding: [0xff,0xff,0xb4,0xd8,0x01,0x00,0x00,0xff]

ds_read_u16_d16 v5, v1
// CHECK: ds_read_u16_d16 v5, v1                  ; encoding: [0x00,0x00,0xb4,0xd8,0x01,0x00,0x00,0x05]

ds_read_u16_d16 v5, v1 offset:0
// CHECK: ds_read_u16_d16 v5, v1                  ; encoding: [0x00,0x00,0xb4,0xd8,0x01,0x00,0x00,0x05]

ds_read_u16_d16 v5, v1 offset:4
// CHECK: ds_read_u16_d16 v5, v1 offset:4         ; encoding: [0x04,0x00,0xb4,0xd8,0x01,0x00,0x00,0x05]

ds_read_u16_d16 v5, v1 offset:65535
// CHECK: ds_read_u16_d16 v5, v1 offset:65535     ; encoding: [0xff,0xff,0xb4,0xd8,0x01,0x00,0x00,0x05]

ds_read_u16_d16 v5, v1 offset:65535 gds
// CHECK: ds_read_u16_d16 v5, v1 offset:65535 gds ; encoding: [0xff,0xff,0xb5,0xd8,0x01,0x00,0x00,0x05]

ds_read_u16_d16 v5, v255 offset:65535
// CHECK: ds_read_u16_d16 v5, v255 offset:65535   ; encoding: [0xff,0xff,0xb4,0xd8,0xff,0x00,0x00,0x05]

ds_read_u16_d16_hi v255, v1 offset:65535
// CHECK: ds_read_u16_d16_hi v255, v1 offset:65535 ; encoding: [0xff,0xff,0xb6,0xd8,0x01,0x00,0x00,0xff]

ds_read_u16_d16_hi v5, v1
// CHECK: ds_read_u16_d16_hi v5, v1               ; encoding: [0x00,0x00,0xb6,0xd8,0x01,0x00,0x00,0x05]

ds_read_u16_d16_hi v5, v1 offset:0
// CHECK: ds_read_u16_d16_hi v5, v1               ; encoding: [0x00,0x00,0xb6,0xd8,0x01,0x00,0x00,0x05]

ds_read_u16_d16_hi v5, v1 offset:4
// CHECK: ds_read_u16_d16_hi v5, v1 offset:4      ; encoding: [0x04,0x00,0xb6,0xd8,0x01,0x00,0x00,0x05]

ds_read_u16_d16_hi v5, v1 offset:65535
// CHECK: ds_read_u16_d16_hi v5, v1 offset:65535  ; encoding: [0xff,0xff,0xb6,0xd8,0x01,0x00,0x00,0x05]

ds_read_u16_d16_hi v5, v1 offset:65535 gds
// CHECK: ds_read_u16_d16_hi v5, v1 offset:65535 gds ; encoding: [0xff,0xff,0xb7,0xd8,0x01,0x00,0x00,0x05]

ds_read_u16_d16_hi v5, v255 offset:65535
// CHECK: ds_read_u16_d16_hi v5, v255 offset:65535 ; encoding: [0xff,0xff,0xb6,0xd8,0xff,0x00,0x00,0x05]

ds_read_u8 v255, v1 offset:65535
// CHECK: ds_read_u8 v255, v1 offset:65535        ; encoding: [0xff,0xff,0x74,0xd8,0x01,0x00,0x00,0xff]

ds_read_u8 v5, v1
// CHECK: ds_read_u8 v5, v1                       ; encoding: [0x00,0x00,0x74,0xd8,0x01,0x00,0x00,0x05]

ds_read_u8 v5, v1 offset:0
// CHECK: ds_read_u8 v5, v1                       ; encoding: [0x00,0x00,0x74,0xd8,0x01,0x00,0x00,0x05]

ds_read_u8 v5, v1 offset:4
// CHECK: ds_read_u8 v5, v1 offset:4              ; encoding: [0x04,0x00,0x74,0xd8,0x01,0x00,0x00,0x05]

ds_read_u8 v5, v1 offset:65535
// CHECK: ds_read_u8 v5, v1 offset:65535          ; encoding: [0xff,0xff,0x74,0xd8,0x01,0x00,0x00,0x05]

ds_read_u8 v5, v1 offset:65535 gds
// CHECK: ds_read_u8 v5, v1 offset:65535 gds      ; encoding: [0xff,0xff,0x75,0xd8,0x01,0x00,0x00,0x05]

ds_read_u8 v5, v255 offset:65535
// CHECK: ds_read_u8 v5, v255 offset:65535        ; encoding: [0xff,0xff,0x74,0xd8,0xff,0x00,0x00,0x05]

ds_read_u8_d16 v255, v1 offset:65535
// CHECK: ds_read_u8_d16 v255, v1 offset:65535    ; encoding: [0xff,0xff,0xac,0xd8,0x01,0x00,0x00,0xff]

ds_read_u8_d16 v5, v1
// CHECK: ds_read_u8_d16 v5, v1                   ; encoding: [0x00,0x00,0xac,0xd8,0x01,0x00,0x00,0x05]

ds_read_u8_d16 v5, v1 offset:0
// CHECK: ds_read_u8_d16 v5, v1                   ; encoding: [0x00,0x00,0xac,0xd8,0x01,0x00,0x00,0x05]

ds_read_u8_d16 v5, v1 offset:4
// CHECK: ds_read_u8_d16 v5, v1 offset:4          ; encoding: [0x04,0x00,0xac,0xd8,0x01,0x00,0x00,0x05]

ds_read_u8_d16 v5, v1 offset:65535
// CHECK: ds_read_u8_d16 v5, v1 offset:65535      ; encoding: [0xff,0xff,0xac,0xd8,0x01,0x00,0x00,0x05]

ds_read_u8_d16 v5, v1 offset:65535 gds
// CHECK: ds_read_u8_d16 v5, v1 offset:65535 gds  ; encoding: [0xff,0xff,0xad,0xd8,0x01,0x00,0x00,0x05]

ds_read_u8_d16 v5, v255 offset:65535
// CHECK: ds_read_u8_d16 v5, v255 offset:65535    ; encoding: [0xff,0xff,0xac,0xd8,0xff,0x00,0x00,0x05]

ds_read_u8_d16_hi v255, v1 offset:65535
// CHECK: ds_read_u8_d16_hi v255, v1 offset:65535 ; encoding: [0xff,0xff,0xae,0xd8,0x01,0x00,0x00,0xff]

ds_read_u8_d16_hi v5, v1
// CHECK: ds_read_u8_d16_hi v5, v1                ; encoding: [0x00,0x00,0xae,0xd8,0x01,0x00,0x00,0x05]

ds_read_u8_d16_hi v5, v1 offset:0
// CHECK: ds_read_u8_d16_hi v5, v1                ; encoding: [0x00,0x00,0xae,0xd8,0x01,0x00,0x00,0x05]

ds_read_u8_d16_hi v5, v1 offset:4
// CHECK: ds_read_u8_d16_hi v5, v1 offset:4       ; encoding: [0x04,0x00,0xae,0xd8,0x01,0x00,0x00,0x05]

ds_read_u8_d16_hi v5, v1 offset:65535
// CHECK: ds_read_u8_d16_hi v5, v1 offset:65535   ; encoding: [0xff,0xff,0xae,0xd8,0x01,0x00,0x00,0x05]

ds_read_u8_d16_hi v5, v1 offset:65535 gds
// CHECK: ds_read_u8_d16_hi v5, v1 offset:65535 gds ; encoding: [0xff,0xff,0xaf,0xd8,0x01,0x00,0x00,0x05]

ds_read_u8_d16_hi v5, v255 offset:65535
// CHECK: ds_read_u8_d16_hi v5, v255 offset:65535 ; encoding: [0xff,0xff,0xae,0xd8,0xff,0x00,0x00,0x05]

ds_rsub_rtn_u32 v255, v1, v2 offset:65535
// CHECK: ds_rsub_rtn_u32 v255, v1, v2 offset:65535 ; encoding: [0xff,0xff,0x44,0xd8,0x01,0x02,0x00,0xff]

ds_rsub_rtn_u32 v5, v1, v2
// CHECK: ds_rsub_rtn_u32 v5, v1, v2              ; encoding: [0x00,0x00,0x44,0xd8,0x01,0x02,0x00,0x05]

ds_rsub_rtn_u32 v5, v1, v2 offset:0
// CHECK: ds_rsub_rtn_u32 v5, v1, v2              ; encoding: [0x00,0x00,0x44,0xd8,0x01,0x02,0x00,0x05]

ds_rsub_rtn_u32 v5, v1, v2 offset:4
// CHECK: ds_rsub_rtn_u32 v5, v1, v2 offset:4     ; encoding: [0x04,0x00,0x44,0xd8,0x01,0x02,0x00,0x05]

ds_rsub_rtn_u32 v5, v1, v2 offset:65535
// CHECK: ds_rsub_rtn_u32 v5, v1, v2 offset:65535 ; encoding: [0xff,0xff,0x44,0xd8,0x01,0x02,0x00,0x05]

ds_rsub_rtn_u32 v5, v1, v2 offset:65535 gds
// CHECK: ds_rsub_rtn_u32 v5, v1, v2 offset:65535 gds ; encoding: [0xff,0xff,0x45,0xd8,0x01,0x02,0x00,0x05]

ds_rsub_rtn_u32 v5, v1, v255 offset:65535
// CHECK: ds_rsub_rtn_u32 v5, v1, v255 offset:65535 ; encoding: [0xff,0xff,0x44,0xd8,0x01,0xff,0x00,0x05]

ds_rsub_rtn_u32 v5, v255, v2 offset:65535
// CHECK: ds_rsub_rtn_u32 v5, v255, v2 offset:65535 ; encoding: [0xff,0xff,0x44,0xd8,0xff,0x02,0x00,0x05]

ds_rsub_rtn_u64 v[254:255], v1, v[2:3] offset:65535
// CHECK: ds_rsub_rtn_u64 v[254:255], v1, v[2:3] offset:65535 ; encoding: [0xff,0xff,0xc4,0xd8,0x01,0x02,0x00,0xfe]

ds_rsub_rtn_u64 v[5:6], v1, v[254:255] offset:65535
// CHECK: ds_rsub_rtn_u64 v[5:6], v1, v[254:255] offset:65535 ; encoding: [0xff,0xff,0xc4,0xd8,0x01,0xfe,0x00,0x05]

ds_rsub_rtn_u64 v[5:6], v1, v[2:3]
// CHECK: ds_rsub_rtn_u64 v[5:6], v1, v[2:3]      ; encoding: [0x00,0x00,0xc4,0xd8,0x01,0x02,0x00,0x05]

ds_rsub_rtn_u64 v[5:6], v1, v[2:3] offset:0
// CHECK: ds_rsub_rtn_u64 v[5:6], v1, v[2:3]      ; encoding: [0x00,0x00,0xc4,0xd8,0x01,0x02,0x00,0x05]

ds_rsub_rtn_u64 v[5:6], v1, v[2:3] offset:4
// CHECK: ds_rsub_rtn_u64 v[5:6], v1, v[2:3] offset:4 ; encoding: [0x04,0x00,0xc4,0xd8,0x01,0x02,0x00,0x05]

ds_rsub_rtn_u64 v[5:6], v1, v[2:3] offset:65535
// CHECK: ds_rsub_rtn_u64 v[5:6], v1, v[2:3] offset:65535 ; encoding: [0xff,0xff,0xc4,0xd8,0x01,0x02,0x00,0x05]

ds_rsub_rtn_u64 v[5:6], v1, v[2:3] offset:65535 gds
// CHECK: ds_rsub_rtn_u64 v[5:6], v1, v[2:3] offset:65535 gds ; encoding: [0xff,0xff,0xc5,0xd8,0x01,0x02,0x00,0x05]

ds_rsub_rtn_u64 v[5:6], v255, v[2:3] offset:65535
// CHECK: ds_rsub_rtn_u64 v[5:6], v255, v[2:3] offset:65535 ; encoding: [0xff,0xff,0xc4,0xd8,0xff,0x02,0x00,0x05]

ds_rsub_src2_u32 v1
// CHECK: ds_rsub_src2_u32 v1                     ; encoding: [0x00,0x00,0x04,0xd9,0x01,0x00,0x00,0x00]

ds_rsub_src2_u32 v1 offset:0
// CHECK: ds_rsub_src2_u32 v1                     ; encoding: [0x00,0x00,0x04,0xd9,0x01,0x00,0x00,0x00]

ds_rsub_src2_u32 v1 offset:4
// CHECK: ds_rsub_src2_u32 v1 offset:4            ; encoding: [0x04,0x00,0x04,0xd9,0x01,0x00,0x00,0x00]

ds_rsub_src2_u32 v1 offset:65535
// CHECK: ds_rsub_src2_u32 v1 offset:65535        ; encoding: [0xff,0xff,0x04,0xd9,0x01,0x00,0x00,0x00]

ds_rsub_src2_u32 v1 offset:65535 gds
// CHECK: ds_rsub_src2_u32 v1 offset:65535 gds    ; encoding: [0xff,0xff,0x05,0xd9,0x01,0x00,0x00,0x00]

ds_rsub_src2_u32 v255 offset:65535
// CHECK: ds_rsub_src2_u32 v255 offset:65535      ; encoding: [0xff,0xff,0x04,0xd9,0xff,0x00,0x00,0x00]

ds_rsub_src2_u64 v1
// CHECK: ds_rsub_src2_u64 v1                     ; encoding: [0x00,0x00,0x84,0xd9,0x01,0x00,0x00,0x00]

ds_rsub_src2_u64 v1 offset:0
// CHECK: ds_rsub_src2_u64 v1                     ; encoding: [0x00,0x00,0x84,0xd9,0x01,0x00,0x00,0x00]

ds_rsub_src2_u64 v1 offset:4
// CHECK: ds_rsub_src2_u64 v1 offset:4            ; encoding: [0x04,0x00,0x84,0xd9,0x01,0x00,0x00,0x00]

ds_rsub_src2_u64 v1 offset:65535
// CHECK: ds_rsub_src2_u64 v1 offset:65535        ; encoding: [0xff,0xff,0x84,0xd9,0x01,0x00,0x00,0x00]

ds_rsub_src2_u64 v1 offset:65535 gds
// CHECK: ds_rsub_src2_u64 v1 offset:65535 gds    ; encoding: [0xff,0xff,0x85,0xd9,0x01,0x00,0x00,0x00]

ds_rsub_src2_u64 v255 offset:65535
// CHECK: ds_rsub_src2_u64 v255 offset:65535      ; encoding: [0xff,0xff,0x84,0xd9,0xff,0x00,0x00,0x00]

ds_rsub_u32 v1, v2
// CHECK: ds_rsub_u32 v1, v2                      ; encoding: [0x00,0x00,0x04,0xd8,0x01,0x02,0x00,0x00]

ds_rsub_u32 v1, v2 offset:0
// CHECK: ds_rsub_u32 v1, v2                      ; encoding: [0x00,0x00,0x04,0xd8,0x01,0x02,0x00,0x00]

ds_rsub_u32 v1, v2 offset:4
// CHECK: ds_rsub_u32 v1, v2 offset:4             ; encoding: [0x04,0x00,0x04,0xd8,0x01,0x02,0x00,0x00]

ds_rsub_u32 v1, v2 offset:65535
// CHECK: ds_rsub_u32 v1, v2 offset:65535         ; encoding: [0xff,0xff,0x04,0xd8,0x01,0x02,0x00,0x00]

ds_rsub_u32 v1, v2 offset:65535 gds
// CHECK: ds_rsub_u32 v1, v2 offset:65535 gds     ; encoding: [0xff,0xff,0x05,0xd8,0x01,0x02,0x00,0x00]

ds_rsub_u32 v1, v255 offset:65535
// CHECK: ds_rsub_u32 v1, v255 offset:65535       ; encoding: [0xff,0xff,0x04,0xd8,0x01,0xff,0x00,0x00]

ds_rsub_u32 v255, v2 offset:65535
// CHECK: ds_rsub_u32 v255, v2 offset:65535       ; encoding: [0xff,0xff,0x04,0xd8,0xff,0x02,0x00,0x00]

ds_rsub_u64 v1, v[254:255] offset:65535
// CHECK: ds_rsub_u64 v1, v[254:255] offset:65535 ; encoding: [0xff,0xff,0x84,0xd8,0x01,0xfe,0x00,0x00]

ds_rsub_u64 v1, v[2:3]
// CHECK: ds_rsub_u64 v1, v[2:3]                  ; encoding: [0x00,0x00,0x84,0xd8,0x01,0x02,0x00,0x00]

ds_rsub_u64 v1, v[2:3] offset:0
// CHECK: ds_rsub_u64 v1, v[2:3]                  ; encoding: [0x00,0x00,0x84,0xd8,0x01,0x02,0x00,0x00]

ds_rsub_u64 v1, v[2:3] offset:4
// CHECK: ds_rsub_u64 v1, v[2:3] offset:4         ; encoding: [0x04,0x00,0x84,0xd8,0x01,0x02,0x00,0x00]

ds_rsub_u64 v1, v[2:3] offset:65535
// CHECK: ds_rsub_u64 v1, v[2:3] offset:65535     ; encoding: [0xff,0xff,0x84,0xd8,0x01,0x02,0x00,0x00]

ds_rsub_u64 v1, v[2:3] offset:65535 gds
// CHECK: ds_rsub_u64 v1, v[2:3] offset:65535 gds ; encoding: [0xff,0xff,0x85,0xd8,0x01,0x02,0x00,0x00]

ds_rsub_u64 v255, v[2:3] offset:65535
// CHECK: ds_rsub_u64 v255, v[2:3] offset:65535   ; encoding: [0xff,0xff,0x84,0xd8,0xff,0x02,0x00,0x00]

ds_sub_rtn_u32 v255, v1, v2 offset:65535
// CHECK: ds_sub_rtn_u32 v255, v1, v2 offset:65535 ; encoding: [0xff,0xff,0x42,0xd8,0x01,0x02,0x00,0xff]

ds_sub_rtn_u32 v5, v1, v2
// CHECK: ds_sub_rtn_u32 v5, v1, v2               ; encoding: [0x00,0x00,0x42,0xd8,0x01,0x02,0x00,0x05]

ds_sub_rtn_u32 v5, v1, v2 offset:0
// CHECK: ds_sub_rtn_u32 v5, v1, v2               ; encoding: [0x00,0x00,0x42,0xd8,0x01,0x02,0x00,0x05]

ds_sub_rtn_u32 v5, v1, v2 offset:4
// CHECK: ds_sub_rtn_u32 v5, v1, v2 offset:4      ; encoding: [0x04,0x00,0x42,0xd8,0x01,0x02,0x00,0x05]

ds_sub_rtn_u32 v5, v1, v2 offset:65535
// CHECK: ds_sub_rtn_u32 v5, v1, v2 offset:65535  ; encoding: [0xff,0xff,0x42,0xd8,0x01,0x02,0x00,0x05]

ds_sub_rtn_u32 v5, v1, v2 offset:65535 gds
// CHECK: ds_sub_rtn_u32 v5, v1, v2 offset:65535 gds ; encoding: [0xff,0xff,0x43,0xd8,0x01,0x02,0x00,0x05]

ds_sub_rtn_u32 v5, v1, v255 offset:65535
// CHECK: ds_sub_rtn_u32 v5, v1, v255 offset:65535 ; encoding: [0xff,0xff,0x42,0xd8,0x01,0xff,0x00,0x05]

ds_sub_rtn_u32 v5, v255, v2 offset:65535
// CHECK: ds_sub_rtn_u32 v5, v255, v2 offset:65535 ; encoding: [0xff,0xff,0x42,0xd8,0xff,0x02,0x00,0x05]

ds_sub_rtn_u64 v[254:255], v1, v[2:3] offset:65535
// CHECK: ds_sub_rtn_u64 v[254:255], v1, v[2:3] offset:65535 ; encoding: [0xff,0xff,0xc2,0xd8,0x01,0x02,0x00,0xfe]

ds_sub_rtn_u64 v[5:6], v1, v[254:255] offset:65535
// CHECK: ds_sub_rtn_u64 v[5:6], v1, v[254:255] offset:65535 ; encoding: [0xff,0xff,0xc2,0xd8,0x01,0xfe,0x00,0x05]

ds_sub_rtn_u64 v[5:6], v1, v[2:3]
// CHECK: ds_sub_rtn_u64 v[5:6], v1, v[2:3]       ; encoding: [0x00,0x00,0xc2,0xd8,0x01,0x02,0x00,0x05]

ds_sub_rtn_u64 v[5:6], v1, v[2:3] offset:0
// CHECK: ds_sub_rtn_u64 v[5:6], v1, v[2:3]       ; encoding: [0x00,0x00,0xc2,0xd8,0x01,0x02,0x00,0x05]

ds_sub_rtn_u64 v[5:6], v1, v[2:3] offset:4
// CHECK: ds_sub_rtn_u64 v[5:6], v1, v[2:3] offset:4 ; encoding: [0x04,0x00,0xc2,0xd8,0x01,0x02,0x00,0x05]

ds_sub_rtn_u64 v[5:6], v1, v[2:3] offset:65535
// CHECK: ds_sub_rtn_u64 v[5:6], v1, v[2:3] offset:65535 ; encoding: [0xff,0xff,0xc2,0xd8,0x01,0x02,0x00,0x05]

ds_sub_rtn_u64 v[5:6], v1, v[2:3] offset:65535 gds
// CHECK: ds_sub_rtn_u64 v[5:6], v1, v[2:3] offset:65535 gds ; encoding: [0xff,0xff,0xc3,0xd8,0x01,0x02,0x00,0x05]

ds_sub_rtn_u64 v[5:6], v255, v[2:3] offset:65535
// CHECK: ds_sub_rtn_u64 v[5:6], v255, v[2:3] offset:65535 ; encoding: [0xff,0xff,0xc2,0xd8,0xff,0x02,0x00,0x05]

ds_sub_src2_u32 v1
// CHECK: ds_sub_src2_u32 v1                      ; encoding: [0x00,0x00,0x02,0xd9,0x01,0x00,0x00,0x00]

ds_sub_src2_u32 v1 offset:0
// CHECK: ds_sub_src2_u32 v1                      ; encoding: [0x00,0x00,0x02,0xd9,0x01,0x00,0x00,0x00]

ds_sub_src2_u32 v1 offset:4
// CHECK: ds_sub_src2_u32 v1 offset:4             ; encoding: [0x04,0x00,0x02,0xd9,0x01,0x00,0x00,0x00]

ds_sub_src2_u32 v1 offset:65535
// CHECK: ds_sub_src2_u32 v1 offset:65535         ; encoding: [0xff,0xff,0x02,0xd9,0x01,0x00,0x00,0x00]

ds_sub_src2_u32 v1 offset:65535 gds
// CHECK: ds_sub_src2_u32 v1 offset:65535 gds     ; encoding: [0xff,0xff,0x03,0xd9,0x01,0x00,0x00,0x00]

ds_sub_src2_u32 v255 offset:65535
// CHECK: ds_sub_src2_u32 v255 offset:65535       ; encoding: [0xff,0xff,0x02,0xd9,0xff,0x00,0x00,0x00]

ds_sub_src2_u64 v1
// CHECK: ds_sub_src2_u64 v1                      ; encoding: [0x00,0x00,0x82,0xd9,0x01,0x00,0x00,0x00]

ds_sub_src2_u64 v1 offset:0
// CHECK: ds_sub_src2_u64 v1                      ; encoding: [0x00,0x00,0x82,0xd9,0x01,0x00,0x00,0x00]

ds_sub_src2_u64 v1 offset:4
// CHECK: ds_sub_src2_u64 v1 offset:4             ; encoding: [0x04,0x00,0x82,0xd9,0x01,0x00,0x00,0x00]

ds_sub_src2_u64 v1 offset:65535
// CHECK: ds_sub_src2_u64 v1 offset:65535         ; encoding: [0xff,0xff,0x82,0xd9,0x01,0x00,0x00,0x00]

ds_sub_src2_u64 v1 offset:65535 gds
// CHECK: ds_sub_src2_u64 v1 offset:65535 gds     ; encoding: [0xff,0xff,0x83,0xd9,0x01,0x00,0x00,0x00]

ds_sub_src2_u64 v255 offset:65535
// CHECK: ds_sub_src2_u64 v255 offset:65535       ; encoding: [0xff,0xff,0x82,0xd9,0xff,0x00,0x00,0x00]

ds_sub_u32 v1, v2
// CHECK: ds_sub_u32 v1, v2                       ; encoding: [0x00,0x00,0x02,0xd8,0x01,0x02,0x00,0x00]

ds_sub_u32 v1, v2 offset:0
// CHECK: ds_sub_u32 v1, v2                       ; encoding: [0x00,0x00,0x02,0xd8,0x01,0x02,0x00,0x00]

ds_sub_u32 v1, v2 offset:4
// CHECK: ds_sub_u32 v1, v2 offset:4              ; encoding: [0x04,0x00,0x02,0xd8,0x01,0x02,0x00,0x00]

ds_sub_u32 v1, v2 offset:65535
// CHECK: ds_sub_u32 v1, v2 offset:65535          ; encoding: [0xff,0xff,0x02,0xd8,0x01,0x02,0x00,0x00]

ds_sub_u32 v1, v2 offset:65535 gds
// CHECK: ds_sub_u32 v1, v2 offset:65535 gds      ; encoding: [0xff,0xff,0x03,0xd8,0x01,0x02,0x00,0x00]

ds_sub_u32 v1, v255 offset:65535
// CHECK: ds_sub_u32 v1, v255 offset:65535        ; encoding: [0xff,0xff,0x02,0xd8,0x01,0xff,0x00,0x00]

ds_sub_u32 v255, v2 offset:65535
// CHECK: ds_sub_u32 v255, v2 offset:65535        ; encoding: [0xff,0xff,0x02,0xd8,0xff,0x02,0x00,0x00]

ds_sub_u64 v1, v[254:255] offset:65535
// CHECK: ds_sub_u64 v1, v[254:255] offset:65535  ; encoding: [0xff,0xff,0x82,0xd8,0x01,0xfe,0x00,0x00]

ds_sub_u64 v1, v[2:3]
// CHECK: ds_sub_u64 v1, v[2:3]                   ; encoding: [0x00,0x00,0x82,0xd8,0x01,0x02,0x00,0x00]

ds_sub_u64 v1, v[2:3] offset:0
// CHECK: ds_sub_u64 v1, v[2:3]                   ; encoding: [0x00,0x00,0x82,0xd8,0x01,0x02,0x00,0x00]

ds_sub_u64 v1, v[2:3] offset:4
// CHECK: ds_sub_u64 v1, v[2:3] offset:4          ; encoding: [0x04,0x00,0x82,0xd8,0x01,0x02,0x00,0x00]

ds_sub_u64 v1, v[2:3] offset:65535
// CHECK: ds_sub_u64 v1, v[2:3] offset:65535      ; encoding: [0xff,0xff,0x82,0xd8,0x01,0x02,0x00,0x00]

ds_sub_u64 v1, v[2:3] offset:65535 gds
// CHECK: ds_sub_u64 v1, v[2:3] offset:65535 gds  ; encoding: [0xff,0xff,0x83,0xd8,0x01,0x02,0x00,0x00]

ds_sub_u64 v255, v[2:3] offset:65535
// CHECK: ds_sub_u64 v255, v[2:3] offset:65535    ; encoding: [0xff,0xff,0x82,0xd8,0xff,0x02,0x00,0x00]

ds_swizzle_b32 v255, v1 offset:65535
// CHECK: ds_swizzle_b32 v255, v1 offset:swizzle(FFT,31) ; encoding: [0xff,0xff,0x7a,0xd8,0x01,0x00,0x00,0xff]

ds_swizzle_b32 v5, v1
// CHECK: ds_swizzle_b32 v5, v1                   ; encoding: [0x00,0x00,0x7a,0xd8,0x01,0x00,0x00,0x05]

ds_swizzle_b32 v5, v1 offset:0
// CHECK: ds_swizzle_b32 v5, v1                   ; encoding: [0x00,0x00,0x7a,0xd8,0x01,0x00,0x00,0x05]

ds_swizzle_b32 v5, v1 offset:4
// CHECK: ds_swizzle_b32 v5, v1 offset:swizzle(BITMASK_PERM,"00p00") ; encoding: [0x04,0x00,0x7a,0xd8,0x01,0x00,0x00,0x05]

ds_swizzle_b32 v5, v1 offset:65535
// CHECK: ds_swizzle_b32 v5, v1 offset:swizzle(FFT,31) ; encoding: [0xff,0xff,0x7a,0xd8,0x01,0x00,0x00,0x05]

ds_swizzle_b32 v5, v1 offset:65535 gds
// CHECK: ds_swizzle_b32 v5, v1 offset:swizzle(FFT,31) gds ; encoding: [0xff,0xff,0x7b,0xd8,0x01,0x00,0x00,0x05]

ds_swizzle_b32 v5, v255 offset:65535
// CHECK: ds_swizzle_b32 v5, v255 offset:swizzle(FFT,31) ; encoding: [0xff,0xff,0x7a,0xd8,0xff,0x00,0x00,0x05]

ds_wrap_rtn_b32 v255, v1, v2, v3 offset:65535
// CHECK: ds_wrap_rtn_b32 v255, v1, v2, v3 offset:65535 ; encoding: [0xff,0xff,0x68,0xd8,0x01,0x02,0x03,0xff]

ds_wrap_rtn_b32 v5, v1, v2, v255 offset:65535
// CHECK: ds_wrap_rtn_b32 v5, v1, v2, v255 offset:65535 ; encoding: [0xff,0xff,0x68,0xd8,0x01,0x02,0xff,0x05]

ds_wrap_rtn_b32 v5, v1, v2, v3
// CHECK: ds_wrap_rtn_b32 v5, v1, v2, v3          ; encoding: [0x00,0x00,0x68,0xd8,0x01,0x02,0x03,0x05]

ds_wrap_rtn_b32 v5, v1, v2, v3 offset:0
// CHECK: ds_wrap_rtn_b32 v5, v1, v2, v3          ; encoding: [0x00,0x00,0x68,0xd8,0x01,0x02,0x03,0x05]

ds_wrap_rtn_b32 v5, v1, v2, v3 offset:4
// CHECK: ds_wrap_rtn_b32 v5, v1, v2, v3 offset:4 ; encoding: [0x04,0x00,0x68,0xd8,0x01,0x02,0x03,0x05]

ds_wrap_rtn_b32 v5, v1, v2, v3 offset:65535
// CHECK: ds_wrap_rtn_b32 v5, v1, v2, v3 offset:65535 ; encoding: [0xff,0xff,0x68,0xd8,0x01,0x02,0x03,0x05]

ds_wrap_rtn_b32 v5, v1, v2, v3 offset:65535 gds
// CHECK: ds_wrap_rtn_b32 v5, v1, v2, v3 offset:65535 gds ; encoding: [0xff,0xff,0x69,0xd8,0x01,0x02,0x03,0x05]

ds_wrap_rtn_b32 v5, v1, v255, v3 offset:65535
// CHECK: ds_wrap_rtn_b32 v5, v1, v255, v3 offset:65535 ; encoding: [0xff,0xff,0x68,0xd8,0x01,0xff,0x03,0x05]

ds_wrap_rtn_b32 v5, v255, v2, v3 offset:65535
// CHECK: ds_wrap_rtn_b32 v5, v255, v2, v3 offset:65535 ; encoding: [0xff,0xff,0x68,0xd8,0xff,0x02,0x03,0x05]

ds_write2_b32 v1, v2, v255 offset0:127 offset1:255
// CHECK: ds_write2_b32 v1, v2, v255 offset0:127 offset1:255 ; encoding: [0x7f,0xff,0x1c,0xd8,0x01,0x02,0xff,0x00]

ds_write2_b32 v1, v2, v3 offset0:0 offset1:255
// CHECK: ds_write2_b32 v1, v2, v3 offset1:255    ; encoding: [0x00,0xff,0x1c,0xd8,0x01,0x02,0x03,0x00]

ds_write2_b32 v1, v2, v3 offset0:127
// CHECK: ds_write2_b32 v1, v2, v3 offset0:127    ; encoding: [0x7f,0x00,0x1c,0xd8,0x01,0x02,0x03,0x00]

ds_write2_b32 v1, v2, v3 offset0:127 offset1:0
// CHECK: ds_write2_b32 v1, v2, v3 offset0:127    ; encoding: [0x7f,0x00,0x1c,0xd8,0x01,0x02,0x03,0x00]

ds_write2_b32 v1, v2, v3 offset0:127 offset1:1
// CHECK: ds_write2_b32 v1, v2, v3 offset0:127 offset1:1 ; encoding: [0x7f,0x01,0x1c,0xd8,0x01,0x02,0x03,0x00]

ds_write2_b32 v1, v2, v3 offset0:127 offset1:255
// CHECK: ds_write2_b32 v1, v2, v3 offset0:127 offset1:255 ; encoding: [0x7f,0xff,0x1c,0xd8,0x01,0x02,0x03,0x00]

ds_write2_b32 v1, v2, v3 offset0:127 offset1:255 gds
// CHECK: ds_write2_b32 v1, v2, v3 offset0:127 offset1:255 gds ; encoding: [0x7f,0xff,0x1d,0xd8,0x01,0x02,0x03,0x00]

ds_write2_b32 v1, v2, v3 offset0:16 offset1:255
// CHECK: ds_write2_b32 v1, v2, v3 offset0:16 offset1:255 ; encoding: [0x10,0xff,0x1c,0xd8,0x01,0x02,0x03,0x00]

ds_write2_b32 v1, v2, v3 offset1:255
// CHECK: ds_write2_b32 v1, v2, v3 offset1:255    ; encoding: [0x00,0xff,0x1c,0xd8,0x01,0x02,0x03,0x00]

ds_write2_b32 v1, v255, v3 offset0:127 offset1:255
// CHECK: ds_write2_b32 v1, v255, v3 offset0:127 offset1:255 ; encoding: [0x7f,0xff,0x1c,0xd8,0x01,0xff,0x03,0x00]

ds_write2_b32 v255, v2, v3 offset0:127 offset1:255
// CHECK: ds_write2_b32 v255, v2, v3 offset0:127 offset1:255 ; encoding: [0x7f,0xff,0x1c,0xd8,0xff,0x02,0x03,0x00]

ds_write2_b64 v1, v[254:255], v[3:4] offset0:127 offset1:255
// CHECK: ds_write2_b64 v1, v[254:255], v[3:4] offset0:127 offset1:255 ; encoding: [0x7f,0xff,0x9c,0xd8,0x01,0xfe,0x03,0x00]

ds_write2_b64 v1, v[2:3], v[254:255] offset0:127 offset1:255
// CHECK: ds_write2_b64 v1, v[2:3], v[254:255] offset0:127 offset1:255 ; encoding: [0x7f,0xff,0x9c,0xd8,0x01,0x02,0xfe,0x00]

ds_write2_b64 v1, v[2:3], v[3:4] offset0:0 offset1:255
// CHECK: ds_write2_b64 v1, v[2:3], v[3:4] offset1:255 ; encoding: [0x00,0xff,0x9c,0xd8,0x01,0x02,0x03,0x00]

ds_write2_b64 v1, v[2:3], v[3:4] offset0:127
// CHECK: ds_write2_b64 v1, v[2:3], v[3:4] offset0:127 ; encoding: [0x7f,0x00,0x9c,0xd8,0x01,0x02,0x03,0x00]

ds_write2_b64 v1, v[2:3], v[3:4] offset0:127 offset1:0
// CHECK: ds_write2_b64 v1, v[2:3], v[3:4] offset0:127 ; encoding: [0x7f,0x00,0x9c,0xd8,0x01,0x02,0x03,0x00]

ds_write2_b64 v1, v[2:3], v[3:4] offset0:127 offset1:1
// CHECK: ds_write2_b64 v1, v[2:3], v[3:4] offset0:127 offset1:1 ; encoding: [0x7f,0x01,0x9c,0xd8,0x01,0x02,0x03,0x00]

ds_write2_b64 v1, v[2:3], v[3:4] offset0:127 offset1:255
// CHECK: ds_write2_b64 v1, v[2:3], v[3:4] offset0:127 offset1:255 ; encoding: [0x7f,0xff,0x9c,0xd8,0x01,0x02,0x03,0x00]

ds_write2_b64 v1, v[2:3], v[3:4] offset0:127 offset1:255 gds
// CHECK: ds_write2_b64 v1, v[2:3], v[3:4] offset0:127 offset1:255 gds ; encoding: [0x7f,0xff,0x9d,0xd8,0x01,0x02,0x03,0x00]

ds_write2_b64 v1, v[2:3], v[3:4] offset0:16 offset1:255
// CHECK: ds_write2_b64 v1, v[2:3], v[3:4] offset0:16 offset1:255 ; encoding: [0x10,0xff,0x9c,0xd8,0x01,0x02,0x03,0x00]

ds_write2_b64 v1, v[2:3], v[3:4] offset1:255
// CHECK: ds_write2_b64 v1, v[2:3], v[3:4] offset1:255 ; encoding: [0x00,0xff,0x9c,0xd8,0x01,0x02,0x03,0x00]

ds_write2_b64 v255, v[2:3], v[3:4] offset0:127 offset1:255
// CHECK: ds_write2_b64 v255, v[2:3], v[3:4] offset0:127 offset1:255 ; encoding: [0x7f,0xff,0x9c,0xd8,0xff,0x02,0x03,0x00]

ds_write2st64_b32 v1, v2, v255 offset0:127 offset1:255
// CHECK: ds_write2st64_b32 v1, v2, v255 offset0:127 offset1:255 ; encoding: [0x7f,0xff,0x1e,0xd8,0x01,0x02,0xff,0x00]

ds_write2st64_b32 v1, v2, v3 offset0:0 offset1:255
// CHECK: ds_write2st64_b32 v1, v2, v3 offset1:255 ; encoding: [0x00,0xff,0x1e,0xd8,0x01,0x02,0x03,0x00]

ds_write2st64_b32 v1, v2, v3 offset0:127
// CHECK: ds_write2st64_b32 v1, v2, v3 offset0:127 ; encoding: [0x7f,0x00,0x1e,0xd8,0x01,0x02,0x03,0x00]

ds_write2st64_b32 v1, v2, v3 offset0:127 offset1:0
// CHECK: ds_write2st64_b32 v1, v2, v3 offset0:127 ; encoding: [0x7f,0x00,0x1e,0xd8,0x01,0x02,0x03,0x00]

ds_write2st64_b32 v1, v2, v3 offset0:127 offset1:1
// CHECK: ds_write2st64_b32 v1, v2, v3 offset0:127 offset1:1 ; encoding: [0x7f,0x01,0x1e,0xd8,0x01,0x02,0x03,0x00]

ds_write2st64_b32 v1, v2, v3 offset0:127 offset1:255
// CHECK: ds_write2st64_b32 v1, v2, v3 offset0:127 offset1:255 ; encoding: [0x7f,0xff,0x1e,0xd8,0x01,0x02,0x03,0x00]

ds_write2st64_b32 v1, v2, v3 offset0:127 offset1:255 gds
// CHECK: ds_write2st64_b32 v1, v2, v3 offset0:127 offset1:255 gds ; encoding: [0x7f,0xff,0x1f,0xd8,0x01,0x02,0x03,0x00]

ds_write2st64_b32 v1, v2, v3 offset0:16 offset1:255
// CHECK: ds_write2st64_b32 v1, v2, v3 offset0:16 offset1:255 ; encoding: [0x10,0xff,0x1e,0xd8,0x01,0x02,0x03,0x00]

ds_write2st64_b32 v1, v2, v3 offset1:255
// CHECK: ds_write2st64_b32 v1, v2, v3 offset1:255 ; encoding: [0x00,0xff,0x1e,0xd8,0x01,0x02,0x03,0x00]

ds_write2st64_b32 v1, v255, v3 offset0:127 offset1:255
// CHECK: ds_write2st64_b32 v1, v255, v3 offset0:127 offset1:255 ; encoding: [0x7f,0xff,0x1e,0xd8,0x01,0xff,0x03,0x00]

ds_write2st64_b32 v255, v2, v3 offset0:127 offset1:255
// CHECK: ds_write2st64_b32 v255, v2, v3 offset0:127 offset1:255 ; encoding: [0x7f,0xff,0x1e,0xd8,0xff,0x02,0x03,0x00]

ds_write2st64_b64 v1, v[254:255], v[3:4] offset0:127 offset1:255
// CHECK: ds_write2st64_b64 v1, v[254:255], v[3:4] offset0:127 offset1:255 ; encoding: [0x7f,0xff,0x9e,0xd8,0x01,0xfe,0x03,0x00]

ds_write2st64_b64 v1, v[2:3], v[254:255] offset0:127 offset1:255
// CHECK: ds_write2st64_b64 v1, v[2:3], v[254:255] offset0:127 offset1:255 ; encoding: [0x7f,0xff,0x9e,0xd8,0x01,0x02,0xfe,0x00]

ds_write2st64_b64 v1, v[2:3], v[3:4] offset0:0 offset1:255
// CHECK: ds_write2st64_b64 v1, v[2:3], v[3:4] offset1:255 ; encoding: [0x00,0xff,0x9e,0xd8,0x01,0x02,0x03,0x00]

ds_write2st64_b64 v1, v[2:3], v[3:4] offset0:127
// CHECK: ds_write2st64_b64 v1, v[2:3], v[3:4] offset0:127 ; encoding: [0x7f,0x00,0x9e,0xd8,0x01,0x02,0x03,0x00]

ds_write2st64_b64 v1, v[2:3], v[3:4] offset0:127 offset1:0
// CHECK: ds_write2st64_b64 v1, v[2:3], v[3:4] offset0:127 ; encoding: [0x7f,0x00,0x9e,0xd8,0x01,0x02,0x03,0x00]

ds_write2st64_b64 v1, v[2:3], v[3:4] offset0:127 offset1:1
// CHECK: ds_write2st64_b64 v1, v[2:3], v[3:4] offset0:127 offset1:1 ; encoding: [0x7f,0x01,0x9e,0xd8,0x01,0x02,0x03,0x00]

ds_write2st64_b64 v1, v[2:3], v[3:4] offset0:127 offset1:255
// CHECK: ds_write2st64_b64 v1, v[2:3], v[3:4] offset0:127 offset1:255 ; encoding: [0x7f,0xff,0x9e,0xd8,0x01,0x02,0x03,0x00]

ds_write2st64_b64 v1, v[2:3], v[3:4] offset0:127 offset1:255 gds
// CHECK: ds_write2st64_b64 v1, v[2:3], v[3:4] offset0:127 offset1:255 gds ; encoding: [0x7f,0xff,0x9f,0xd8,0x01,0x02,0x03,0x00]

ds_write2st64_b64 v1, v[2:3], v[3:4] offset0:16 offset1:255
// CHECK: ds_write2st64_b64 v1, v[2:3], v[3:4] offset0:16 offset1:255 ; encoding: [0x10,0xff,0x9e,0xd8,0x01,0x02,0x03,0x00]

ds_write2st64_b64 v1, v[2:3], v[3:4] offset1:255
// CHECK: ds_write2st64_b64 v1, v[2:3], v[3:4] offset1:255 ; encoding: [0x00,0xff,0x9e,0xd8,0x01,0x02,0x03,0x00]

ds_write2st64_b64 v255, v[2:3], v[3:4] offset0:127 offset1:255
// CHECK: ds_write2st64_b64 v255, v[2:3], v[3:4] offset0:127 offset1:255 ; encoding: [0x7f,0xff,0x9e,0xd8,0xff,0x02,0x03,0x00]

ds_write_addtid_b32 v1
// CHECK: ds_write_addtid_b32 v1                  ; encoding: [0x00,0x00,0x3a,0xd8,0x00,0x01,0x00,0x00]

ds_write_addtid_b32 v1 offset:0
// CHECK: ds_write_addtid_b32 v1                  ; encoding: [0x00,0x00,0x3a,0xd8,0x00,0x01,0x00,0x00]

ds_write_addtid_b32 v1 offset:4
// CHECK: ds_write_addtid_b32 v1 offset:4         ; encoding: [0x04,0x00,0x3a,0xd8,0x00,0x01,0x00,0x00]

ds_write_addtid_b32 v1 offset:65535
// CHECK: ds_write_addtid_b32 v1 offset:65535     ; encoding: [0xff,0xff,0x3a,0xd8,0x00,0x01,0x00,0x00]

ds_write_addtid_b32 v1 offset:65535 gds
// CHECK: ds_write_addtid_b32 v1 offset:65535 gds ; encoding: [0xff,0xff,0x3b,0xd8,0x00,0x01,0x00,0x00]

ds_write_addtid_b32 v255 offset:65535
// CHECK: ds_write_addtid_b32 v255 offset:65535   ; encoding: [0xff,0xff,0x3a,0xd8,0x00,0xff,0x00,0x00]

ds_write_b128 v1, v[252:255] offset:65535
// CHECK: ds_write_b128 v1, v[252:255] offset:65535 ; encoding: [0xff,0xff,0xbe,0xd9,0x01,0xfc,0x00,0x00]

ds_write_b128 v1, v[2:5]
// CHECK: ds_write_b128 v1, v[2:5]                ; encoding: [0x00,0x00,0xbe,0xd9,0x01,0x02,0x00,0x00]

ds_write_b128 v1, v[2:5] offset:0
// CHECK: ds_write_b128 v1, v[2:5]                ; encoding: [0x00,0x00,0xbe,0xd9,0x01,0x02,0x00,0x00]

ds_write_b128 v1, v[2:5] offset:4
// CHECK: ds_write_b128 v1, v[2:5] offset:4       ; encoding: [0x04,0x00,0xbe,0xd9,0x01,0x02,0x00,0x00]

ds_write_b128 v1, v[2:5] offset:65535
// CHECK: ds_write_b128 v1, v[2:5] offset:65535   ; encoding: [0xff,0xff,0xbe,0xd9,0x01,0x02,0x00,0x00]

ds_write_b128 v1, v[2:5] offset:65535 gds
// CHECK: ds_write_b128 v1, v[2:5] offset:65535 gds ; encoding: [0xff,0xff,0xbf,0xd9,0x01,0x02,0x00,0x00]

ds_write_b128 v255, v[2:5] offset:65535
// CHECK: ds_write_b128 v255, v[2:5] offset:65535 ; encoding: [0xff,0xff,0xbe,0xd9,0xff,0x02,0x00,0x00]

ds_write_b16 v1, v2
// CHECK: ds_write_b16 v1, v2                     ; encoding: [0x00,0x00,0x3e,0xd8,0x01,0x02,0x00,0x00]

ds_write_b16 v1, v2 offset:0
// CHECK: ds_write_b16 v1, v2                     ; encoding: [0x00,0x00,0x3e,0xd8,0x01,0x02,0x00,0x00]

ds_write_b16 v1, v2 offset:4
// CHECK: ds_write_b16 v1, v2 offset:4            ; encoding: [0x04,0x00,0x3e,0xd8,0x01,0x02,0x00,0x00]

ds_write_b16 v1, v2 offset:65535
// CHECK: ds_write_b16 v1, v2 offset:65535        ; encoding: [0xff,0xff,0x3e,0xd8,0x01,0x02,0x00,0x00]

ds_write_b16 v1, v2 offset:65535 gds
// CHECK: ds_write_b16 v1, v2 offset:65535 gds    ; encoding: [0xff,0xff,0x3f,0xd8,0x01,0x02,0x00,0x00]

ds_write_b16 v1, v255 offset:65535
// CHECK: ds_write_b16 v1, v255 offset:65535      ; encoding: [0xff,0xff,0x3e,0xd8,0x01,0xff,0x00,0x00]

ds_write_b16 v255, v2 offset:65535
// CHECK: ds_write_b16 v255, v2 offset:65535      ; encoding: [0xff,0xff,0x3e,0xd8,0xff,0x02,0x00,0x00]

ds_write_b16_d16_hi v1, v2
// CHECK: ds_write_b16_d16_hi v1, v2              ; encoding: [0x00,0x00,0xaa,0xd8,0x01,0x02,0x00,0x00]

ds_write_b16_d16_hi v1, v2 offset:0
// CHECK: ds_write_b16_d16_hi v1, v2              ; encoding: [0x00,0x00,0xaa,0xd8,0x01,0x02,0x00,0x00]

ds_write_b16_d16_hi v1, v2 offset:4
// CHECK: ds_write_b16_d16_hi v1, v2 offset:4     ; encoding: [0x04,0x00,0xaa,0xd8,0x01,0x02,0x00,0x00]

ds_write_b16_d16_hi v1, v2 offset:65535
// CHECK: ds_write_b16_d16_hi v1, v2 offset:65535 ; encoding: [0xff,0xff,0xaa,0xd8,0x01,0x02,0x00,0x00]

ds_write_b16_d16_hi v1, v2 offset:65535 gds
// CHECK: ds_write_b16_d16_hi v1, v2 offset:65535 gds ; encoding: [0xff,0xff,0xab,0xd8,0x01,0x02,0x00,0x00]

ds_write_b16_d16_hi v1, v255 offset:65535
// CHECK: ds_write_b16_d16_hi v1, v255 offset:65535 ; encoding: [0xff,0xff,0xaa,0xd8,0x01,0xff,0x00,0x00]

ds_write_b16_d16_hi v255, v2 offset:65535
// CHECK: ds_write_b16_d16_hi v255, v2 offset:65535 ; encoding: [0xff,0xff,0xaa,0xd8,0xff,0x02,0x00,0x00]

ds_write_b32 v1, v2
// CHECK: ds_write_b32 v1, v2                     ; encoding: [0x00,0x00,0x1a,0xd8,0x01,0x02,0x00,0x00]

ds_write_b32 v1, v2 offset:0
// CHECK: ds_write_b32 v1, v2                     ; encoding: [0x00,0x00,0x1a,0xd8,0x01,0x02,0x00,0x00]

ds_write_b32 v1, v2 offset:4
// CHECK: ds_write_b32 v1, v2 offset:4            ; encoding: [0x04,0x00,0x1a,0xd8,0x01,0x02,0x00,0x00]

ds_write_b32 v1, v2 offset:65535
// CHECK: ds_write_b32 v1, v2 offset:65535        ; encoding: [0xff,0xff,0x1a,0xd8,0x01,0x02,0x00,0x00]

ds_write_b32 v1, v2 offset:65535 gds
// CHECK: ds_write_b32 v1, v2 offset:65535 gds    ; encoding: [0xff,0xff,0x1b,0xd8,0x01,0x02,0x00,0x00]

ds_write_b32 v1, v255 offset:65535
// CHECK: ds_write_b32 v1, v255 offset:65535      ; encoding: [0xff,0xff,0x1a,0xd8,0x01,0xff,0x00,0x00]

ds_write_b32 v255, v2 offset:65535
// CHECK: ds_write_b32 v255, v2 offset:65535      ; encoding: [0xff,0xff,0x1a,0xd8,0xff,0x02,0x00,0x00]

ds_write_b64 v1, v[254:255] offset:65535
// CHECK: ds_write_b64 v1, v[254:255] offset:65535 ; encoding: [0xff,0xff,0x9a,0xd8,0x01,0xfe,0x00,0x00]

ds_write_b64 v1, v[2:3]
// CHECK: ds_write_b64 v1, v[2:3]                 ; encoding: [0x00,0x00,0x9a,0xd8,0x01,0x02,0x00,0x00]

ds_write_b64 v1, v[2:3] offset:0
// CHECK: ds_write_b64 v1, v[2:3]                 ; encoding: [0x00,0x00,0x9a,0xd8,0x01,0x02,0x00,0x00]

ds_write_b64 v1, v[2:3] offset:4
// CHECK: ds_write_b64 v1, v[2:3] offset:4        ; encoding: [0x04,0x00,0x9a,0xd8,0x01,0x02,0x00,0x00]

ds_write_b64 v1, v[2:3] offset:65535
// CHECK: ds_write_b64 v1, v[2:3] offset:65535    ; encoding: [0xff,0xff,0x9a,0xd8,0x01,0x02,0x00,0x00]

ds_write_b64 v1, v[2:3] offset:65535 gds
// CHECK: ds_write_b64 v1, v[2:3] offset:65535 gds ; encoding: [0xff,0xff,0x9b,0xd8,0x01,0x02,0x00,0x00]

ds_write_b64 v255, v[2:3] offset:65535
// CHECK: ds_write_b64 v255, v[2:3] offset:65535  ; encoding: [0xff,0xff,0x9a,0xd8,0xff,0x02,0x00,0x00]

ds_write_b8 v1, v2
// CHECK: ds_write_b8 v1, v2                      ; encoding: [0x00,0x00,0x3c,0xd8,0x01,0x02,0x00,0x00]

ds_write_b8 v1, v2 offset:0
// CHECK: ds_write_b8 v1, v2                      ; encoding: [0x00,0x00,0x3c,0xd8,0x01,0x02,0x00,0x00]

ds_write_b8 v1, v2 offset:4
// CHECK: ds_write_b8 v1, v2 offset:4             ; encoding: [0x04,0x00,0x3c,0xd8,0x01,0x02,0x00,0x00]

ds_write_b8 v1, v2 offset:65535
// CHECK: ds_write_b8 v1, v2 offset:65535         ; encoding: [0xff,0xff,0x3c,0xd8,0x01,0x02,0x00,0x00]

ds_write_b8 v1, v2 offset:65535 gds
// CHECK: ds_write_b8 v1, v2 offset:65535 gds     ; encoding: [0xff,0xff,0x3d,0xd8,0x01,0x02,0x00,0x00]

ds_write_b8 v1, v255 offset:65535
// CHECK: ds_write_b8 v1, v255 offset:65535       ; encoding: [0xff,0xff,0x3c,0xd8,0x01,0xff,0x00,0x00]

ds_write_b8 v255, v2 offset:65535
// CHECK: ds_write_b8 v255, v2 offset:65535       ; encoding: [0xff,0xff,0x3c,0xd8,0xff,0x02,0x00,0x00]

ds_write_b8_d16_hi v1, v2
// CHECK: ds_write_b8_d16_hi v1, v2               ; encoding: [0x00,0x00,0xa8,0xd8,0x01,0x02,0x00,0x00]

ds_write_b8_d16_hi v1, v2 offset:0
// CHECK: ds_write_b8_d16_hi v1, v2               ; encoding: [0x00,0x00,0xa8,0xd8,0x01,0x02,0x00,0x00]

ds_write_b8_d16_hi v1, v2 offset:4
// CHECK: ds_write_b8_d16_hi v1, v2 offset:4      ; encoding: [0x04,0x00,0xa8,0xd8,0x01,0x02,0x00,0x00]

ds_write_b8_d16_hi v1, v2 offset:65535
// CHECK: ds_write_b8_d16_hi v1, v2 offset:65535  ; encoding: [0xff,0xff,0xa8,0xd8,0x01,0x02,0x00,0x00]

ds_write_b8_d16_hi v1, v2 offset:65535 gds
// CHECK: ds_write_b8_d16_hi v1, v2 offset:65535 gds ; encoding: [0xff,0xff,0xa9,0xd8,0x01,0x02,0x00,0x00]

ds_write_b8_d16_hi v1, v255 offset:65535
// CHECK: ds_write_b8_d16_hi v1, v255 offset:65535 ; encoding: [0xff,0xff,0xa8,0xd8,0x01,0xff,0x00,0x00]

ds_write_b8_d16_hi v255, v2 offset:65535
// CHECK: ds_write_b8_d16_hi v255, v2 offset:65535 ; encoding: [0xff,0xff,0xa8,0xd8,0xff,0x02,0x00,0x00]

ds_write_b96 v1, v[253:255] offset:65535
// CHECK: ds_write_b96 v1, v[253:255] offset:65535 ; encoding: [0xff,0xff,0xbc,0xd9,0x01,0xfd,0x00,0x00]

ds_write_b96 v1, v[2:4]
// CHECK: ds_write_b96 v1, v[2:4]                 ; encoding: [0x00,0x00,0xbc,0xd9,0x01,0x02,0x00,0x00]

ds_write_b96 v1, v[2:4] offset:0
// CHECK: ds_write_b96 v1, v[2:4]                 ; encoding: [0x00,0x00,0xbc,0xd9,0x01,0x02,0x00,0x00]

ds_write_b96 v1, v[2:4] offset:4
// CHECK: ds_write_b96 v1, v[2:4] offset:4        ; encoding: [0x04,0x00,0xbc,0xd9,0x01,0x02,0x00,0x00]

ds_write_b96 v1, v[2:4] offset:65535
// CHECK: ds_write_b96 v1, v[2:4] offset:65535    ; encoding: [0xff,0xff,0xbc,0xd9,0x01,0x02,0x00,0x00]

ds_write_b96 v1, v[2:4] offset:65535 gds
// CHECK: ds_write_b96 v1, v[2:4] offset:65535 gds ; encoding: [0xff,0xff,0xbd,0xd9,0x01,0x02,0x00,0x00]

ds_write_b96 v255, v[2:4] offset:65535
// CHECK: ds_write_b96 v255, v[2:4] offset:65535  ; encoding: [0xff,0xff,0xbc,0xd9,0xff,0x02,0x00,0x00]

ds_write_src2_b32 v1
// CHECK: ds_write_src2_b32 v1                    ; encoding: [0x00,0x00,0x1a,0xd9,0x01,0x00,0x00,0x00]

ds_write_src2_b32 v1 offset:0
// CHECK: ds_write_src2_b32 v1                    ; encoding: [0x00,0x00,0x1a,0xd9,0x01,0x00,0x00,0x00]

ds_write_src2_b32 v1 offset:4
// CHECK: ds_write_src2_b32 v1 offset:4           ; encoding: [0x04,0x00,0x1a,0xd9,0x01,0x00,0x00,0x00]

ds_write_src2_b32 v1 offset:65535
// CHECK: ds_write_src2_b32 v1 offset:65535       ; encoding: [0xff,0xff,0x1a,0xd9,0x01,0x00,0x00,0x00]

ds_write_src2_b32 v1 offset:65535 gds
// CHECK: ds_write_src2_b32 v1 offset:65535 gds   ; encoding: [0xff,0xff,0x1b,0xd9,0x01,0x00,0x00,0x00]

ds_write_src2_b32 v255 offset:65535
// CHECK: ds_write_src2_b32 v255 offset:65535     ; encoding: [0xff,0xff,0x1a,0xd9,0xff,0x00,0x00,0x00]

ds_write_src2_b64 v1
// CHECK: ds_write_src2_b64 v1                    ; encoding: [0x00,0x00,0x9a,0xd9,0x01,0x00,0x00,0x00]

ds_write_src2_b64 v1 offset:0
// CHECK: ds_write_src2_b64 v1                    ; encoding: [0x00,0x00,0x9a,0xd9,0x01,0x00,0x00,0x00]

ds_write_src2_b64 v1 offset:4
// CHECK: ds_write_src2_b64 v1 offset:4           ; encoding: [0x04,0x00,0x9a,0xd9,0x01,0x00,0x00,0x00]

ds_write_src2_b64 v1 offset:65535
// CHECK: ds_write_src2_b64 v1 offset:65535       ; encoding: [0xff,0xff,0x9a,0xd9,0x01,0x00,0x00,0x00]

ds_write_src2_b64 v1 offset:65535 gds
// CHECK: ds_write_src2_b64 v1 offset:65535 gds   ; encoding: [0xff,0xff,0x9b,0xd9,0x01,0x00,0x00,0x00]

ds_write_src2_b64 v255 offset:65535
// CHECK: ds_write_src2_b64 v255 offset:65535     ; encoding: [0xff,0xff,0x9a,0xd9,0xff,0x00,0x00,0x00]

ds_wrxchg2_rtn_b32 v[254:255], v1, v2, v3 offset0:127 offset1:255
// CHECK: ds_wrxchg2_rtn_b32 v[254:255], v1, v2, v3 offset0:127 offset1:255 ; encoding: [0x7f,0xff,0x5c,0xd8,0x01,0x02,0x03,0xfe]

ds_wrxchg2_rtn_b32 v[5:6], v1, v2, v255 offset0:127 offset1:255
// CHECK: ds_wrxchg2_rtn_b32 v[5:6], v1, v2, v255 offset0:127 offset1:255 ; encoding: [0x7f,0xff,0x5c,0xd8,0x01,0x02,0xff,0x05]

ds_wrxchg2_rtn_b32 v[5:6], v1, v2, v3 offset0:0 offset1:255
// CHECK: ds_wrxchg2_rtn_b32 v[5:6], v1, v2, v3 offset1:255 ; encoding: [0x00,0xff,0x5c,0xd8,0x01,0x02,0x03,0x05]

ds_wrxchg2_rtn_b32 v[5:6], v1, v2, v3 offset0:127
// CHECK: ds_wrxchg2_rtn_b32 v[5:6], v1, v2, v3 offset0:127 ; encoding: [0x7f,0x00,0x5c,0xd8,0x01,0x02,0x03,0x05]

ds_wrxchg2_rtn_b32 v[5:6], v1, v2, v3 offset0:127 offset1:0
// CHECK: ds_wrxchg2_rtn_b32 v[5:6], v1, v2, v3 offset0:127 ; encoding: [0x7f,0x00,0x5c,0xd8,0x01,0x02,0x03,0x05]

ds_wrxchg2_rtn_b32 v[5:6], v1, v2, v3 offset0:127 offset1:1
// CHECK: ds_wrxchg2_rtn_b32 v[5:6], v1, v2, v3 offset0:127 offset1:1 ; encoding: [0x7f,0x01,0x5c,0xd8,0x01,0x02,0x03,0x05]

ds_wrxchg2_rtn_b32 v[5:6], v1, v2, v3 offset0:127 offset1:255
// CHECK: ds_wrxchg2_rtn_b32 v[5:6], v1, v2, v3 offset0:127 offset1:255 ; encoding: [0x7f,0xff,0x5c,0xd8,0x01,0x02,0x03,0x05]

ds_wrxchg2_rtn_b32 v[5:6], v1, v2, v3 offset0:127 offset1:255 gds
// CHECK: ds_wrxchg2_rtn_b32 v[5:6], v1, v2, v3 offset0:127 offset1:255 gds ; encoding: [0x7f,0xff,0x5d,0xd8,0x01,0x02,0x03,0x05]

ds_wrxchg2_rtn_b32 v[5:6], v1, v2, v3 offset0:16 offset1:255
// CHECK: ds_wrxchg2_rtn_b32 v[5:6], v1, v2, v3 offset0:16 offset1:255 ; encoding: [0x10,0xff,0x5c,0xd8,0x01,0x02,0x03,0x05]

ds_wrxchg2_rtn_b32 v[5:6], v1, v2, v3 offset1:255
// CHECK: ds_wrxchg2_rtn_b32 v[5:6], v1, v2, v3 offset1:255 ; encoding: [0x00,0xff,0x5c,0xd8,0x01,0x02,0x03,0x05]

ds_wrxchg2_rtn_b32 v[5:6], v1, v255, v3 offset0:127 offset1:255
// CHECK: ds_wrxchg2_rtn_b32 v[5:6], v1, v255, v3 offset0:127 offset1:255 ; encoding: [0x7f,0xff,0x5c,0xd8,0x01,0xff,0x03,0x05]

ds_wrxchg2_rtn_b32 v[5:6], v255, v2, v3 offset0:127 offset1:255
// CHECK: ds_wrxchg2_rtn_b32 v[5:6], v255, v2, v3 offset0:127 offset1:255 ; encoding: [0x7f,0xff,0x5c,0xd8,0xff,0x02,0x03,0x05]

ds_wrxchg2_rtn_b64 v[252:255], v1, v[2:3], v[3:4] offset0:127 offset1:255
// CHECK: ds_wrxchg2_rtn_b64 v[252:255], v1, v[2:3], v[3:4] offset0:127 offset1:255 ; encoding: [0x7f,0xff,0xdc,0xd8,0x01,0x02,0x03,0xfc]

ds_wrxchg2_rtn_b64 v[5:8], v1, v[254:255], v[3:4] offset0:127 offset1:255
// CHECK: ds_wrxchg2_rtn_b64 v[5:8], v1, v[254:255], v[3:4] offset0:127 offset1:255 ; encoding: [0x7f,0xff,0xdc,0xd8,0x01,0xfe,0x03,0x05]
	;; [unrolled: 3-line block ×3, first 2 shown]

ds_wrxchg2_rtn_b64 v[5:8], v1, v[2:3], v[3:4] offset0:0 offset1:255
// CHECK: ds_wrxchg2_rtn_b64 v[5:8], v1, v[2:3], v[3:4] offset1:255 ; encoding: [0x00,0xff,0xdc,0xd8,0x01,0x02,0x03,0x05]

ds_wrxchg2_rtn_b64 v[5:8], v1, v[2:3], v[3:4] offset0:127
// CHECK: ds_wrxchg2_rtn_b64 v[5:8], v1, v[2:3], v[3:4] offset0:127 ; encoding: [0x7f,0x00,0xdc,0xd8,0x01,0x02,0x03,0x05]

ds_wrxchg2_rtn_b64 v[5:8], v1, v[2:3], v[3:4] offset0:127 offset1:0
// CHECK: ds_wrxchg2_rtn_b64 v[5:8], v1, v[2:3], v[3:4] offset0:127 ; encoding: [0x7f,0x00,0xdc,0xd8,0x01,0x02,0x03,0x05]

ds_wrxchg2_rtn_b64 v[5:8], v1, v[2:3], v[3:4] offset0:127 offset1:1
// CHECK: ds_wrxchg2_rtn_b64 v[5:8], v1, v[2:3], v[3:4] offset0:127 offset1:1 ; encoding: [0x7f,0x01,0xdc,0xd8,0x01,0x02,0x03,0x05]

ds_wrxchg2_rtn_b64 v[5:8], v1, v[2:3], v[3:4] offset0:127 offset1:255
// CHECK: ds_wrxchg2_rtn_b64 v[5:8], v1, v[2:3], v[3:4] offset0:127 offset1:255 ; encoding: [0x7f,0xff,0xdc,0xd8,0x01,0x02,0x03,0x05]

ds_wrxchg2_rtn_b64 v[5:8], v1, v[2:3], v[3:4] offset0:127 offset1:255 gds
// CHECK: ds_wrxchg2_rtn_b64 v[5:8], v1, v[2:3], v[3:4] offset0:127 offset1:255 gds ; encoding: [0x7f,0xff,0xdd,0xd8,0x01,0x02,0x03,0x05]

ds_wrxchg2_rtn_b64 v[5:8], v1, v[2:3], v[3:4] offset0:16 offset1:255
// CHECK: ds_wrxchg2_rtn_b64 v[5:8], v1, v[2:3], v[3:4] offset0:16 offset1:255 ; encoding: [0x10,0xff,0xdc,0xd8,0x01,0x02,0x03,0x05]

ds_wrxchg2_rtn_b64 v[5:8], v1, v[2:3], v[3:4] offset1:255
// CHECK: ds_wrxchg2_rtn_b64 v[5:8], v1, v[2:3], v[3:4] offset1:255 ; encoding: [0x00,0xff,0xdc,0xd8,0x01,0x02,0x03,0x05]

ds_wrxchg2_rtn_b64 v[5:8], v255, v[2:3], v[3:4] offset0:127 offset1:255
// CHECK: ds_wrxchg2_rtn_b64 v[5:8], v255, v[2:3], v[3:4] offset0:127 offset1:255 ; encoding: [0x7f,0xff,0xdc,0xd8,0xff,0x02,0x03,0x05]

ds_wrxchg2st64_rtn_b32 v[254:255], v1, v2, v3 offset0:127 offset1:255
// CHECK: ds_wrxchg2st64_rtn_b32 v[254:255], v1, v2, v3 offset0:127 offset1:255 ; encoding: [0x7f,0xff,0x5e,0xd8,0x01,0x02,0x03,0xfe]

ds_wrxchg2st64_rtn_b32 v[5:6], v1, v2, v255 offset0:127 offset1:255
// CHECK: ds_wrxchg2st64_rtn_b32 v[5:6], v1, v2, v255 offset0:127 offset1:255 ; encoding: [0x7f,0xff,0x5e,0xd8,0x01,0x02,0xff,0x05]

ds_wrxchg2st64_rtn_b32 v[5:6], v1, v2, v3 offset0:0 offset1:255
// CHECK: ds_wrxchg2st64_rtn_b32 v[5:6], v1, v2, v3 offset1:255 ; encoding: [0x00,0xff,0x5e,0xd8,0x01,0x02,0x03,0x05]

ds_wrxchg2st64_rtn_b32 v[5:6], v1, v2, v3 offset0:127
// CHECK: ds_wrxchg2st64_rtn_b32 v[5:6], v1, v2, v3 offset0:127 ; encoding: [0x7f,0x00,0x5e,0xd8,0x01,0x02,0x03,0x05]

ds_wrxchg2st64_rtn_b32 v[5:6], v1, v2, v3 offset0:127 offset1:0
// CHECK: ds_wrxchg2st64_rtn_b32 v[5:6], v1, v2, v3 offset0:127 ; encoding: [0x7f,0x00,0x5e,0xd8,0x01,0x02,0x03,0x05]

ds_wrxchg2st64_rtn_b32 v[5:6], v1, v2, v3 offset0:127 offset1:1
// CHECK: ds_wrxchg2st64_rtn_b32 v[5:6], v1, v2, v3 offset0:127 offset1:1 ; encoding: [0x7f,0x01,0x5e,0xd8,0x01,0x02,0x03,0x05]

ds_wrxchg2st64_rtn_b32 v[5:6], v1, v2, v3 offset0:127 offset1:255
// CHECK: ds_wrxchg2st64_rtn_b32 v[5:6], v1, v2, v3 offset0:127 offset1:255 ; encoding: [0x7f,0xff,0x5e,0xd8,0x01,0x02,0x03,0x05]

ds_wrxchg2st64_rtn_b32 v[5:6], v1, v2, v3 offset0:127 offset1:255 gds
// CHECK: ds_wrxchg2st64_rtn_b32 v[5:6], v1, v2, v3 offset0:127 offset1:255 gds ; encoding: [0x7f,0xff,0x5f,0xd8,0x01,0x02,0x03,0x05]

ds_wrxchg2st64_rtn_b32 v[5:6], v1, v2, v3 offset0:16 offset1:255
// CHECK: ds_wrxchg2st64_rtn_b32 v[5:6], v1, v2, v3 offset0:16 offset1:255 ; encoding: [0x10,0xff,0x5e,0xd8,0x01,0x02,0x03,0x05]

ds_wrxchg2st64_rtn_b32 v[5:6], v1, v2, v3 offset1:255
// CHECK: ds_wrxchg2st64_rtn_b32 v[5:6], v1, v2, v3 offset1:255 ; encoding: [0x00,0xff,0x5e,0xd8,0x01,0x02,0x03,0x05]

ds_wrxchg2st64_rtn_b32 v[5:6], v1, v255, v3 offset0:127 offset1:255
// CHECK: ds_wrxchg2st64_rtn_b32 v[5:6], v1, v255, v3 offset0:127 offset1:255 ; encoding: [0x7f,0xff,0x5e,0xd8,0x01,0xff,0x03,0x05]

ds_wrxchg2st64_rtn_b32 v[5:6], v255, v2, v3 offset0:127 offset1:255
// CHECK: ds_wrxchg2st64_rtn_b32 v[5:6], v255, v2, v3 offset0:127 offset1:255 ; encoding: [0x7f,0xff,0x5e,0xd8,0xff,0x02,0x03,0x05]

ds_wrxchg2st64_rtn_b64 v[252:255], v1, v[2:3], v[3:4] offset0:127 offset1:255
// CHECK: ds_wrxchg2st64_rtn_b64 v[252:255], v1, v[2:3], v[3:4] offset0:127 offset1:255 ; encoding: [0x7f,0xff,0xde,0xd8,0x01,0x02,0x03,0xfc]

ds_wrxchg2st64_rtn_b64 v[5:8], v1, v[254:255], v[3:4] offset0:127 offset1:255
// CHECK: ds_wrxchg2st64_rtn_b64 v[5:8], v1, v[254:255], v[3:4] offset0:127 offset1:255 ; encoding: [0x7f,0xff,0xde,0xd8,0x01,0xfe,0x03,0x05]
	;; [unrolled: 3-line block ×3, first 2 shown]

ds_wrxchg2st64_rtn_b64 v[5:8], v1, v[2:3], v[3:4] offset0:0 offset1:255
// CHECK: ds_wrxchg2st64_rtn_b64 v[5:8], v1, v[2:3], v[3:4] offset1:255 ; encoding: [0x00,0xff,0xde,0xd8,0x01,0x02,0x03,0x05]

ds_wrxchg2st64_rtn_b64 v[5:8], v1, v[2:3], v[3:4] offset0:127
// CHECK: ds_wrxchg2st64_rtn_b64 v[5:8], v1, v[2:3], v[3:4] offset0:127 ; encoding: [0x7f,0x00,0xde,0xd8,0x01,0x02,0x03,0x05]

ds_wrxchg2st64_rtn_b64 v[5:8], v1, v[2:3], v[3:4] offset0:127 offset1:0
// CHECK: ds_wrxchg2st64_rtn_b64 v[5:8], v1, v[2:3], v[3:4] offset0:127 ; encoding: [0x7f,0x00,0xde,0xd8,0x01,0x02,0x03,0x05]

ds_wrxchg2st64_rtn_b64 v[5:8], v1, v[2:3], v[3:4] offset0:127 offset1:1
// CHECK: ds_wrxchg2st64_rtn_b64 v[5:8], v1, v[2:3], v[3:4] offset0:127 offset1:1 ; encoding: [0x7f,0x01,0xde,0xd8,0x01,0x02,0x03,0x05]

ds_wrxchg2st64_rtn_b64 v[5:8], v1, v[2:3], v[3:4] offset0:127 offset1:255
// CHECK: ds_wrxchg2st64_rtn_b64 v[5:8], v1, v[2:3], v[3:4] offset0:127 offset1:255 ; encoding: [0x7f,0xff,0xde,0xd8,0x01,0x02,0x03,0x05]

ds_wrxchg2st64_rtn_b64 v[5:8], v1, v[2:3], v[3:4] offset0:127 offset1:255 gds
// CHECK: ds_wrxchg2st64_rtn_b64 v[5:8], v1, v[2:3], v[3:4] offset0:127 offset1:255 gds ; encoding: [0x7f,0xff,0xdf,0xd8,0x01,0x02,0x03,0x05]

ds_wrxchg2st64_rtn_b64 v[5:8], v1, v[2:3], v[3:4] offset0:16 offset1:255
// CHECK: ds_wrxchg2st64_rtn_b64 v[5:8], v1, v[2:3], v[3:4] offset0:16 offset1:255 ; encoding: [0x10,0xff,0xde,0xd8,0x01,0x02,0x03,0x05]

ds_wrxchg2st64_rtn_b64 v[5:8], v1, v[2:3], v[3:4] offset1:255
// CHECK: ds_wrxchg2st64_rtn_b64 v[5:8], v1, v[2:3], v[3:4] offset1:255 ; encoding: [0x00,0xff,0xde,0xd8,0x01,0x02,0x03,0x05]

ds_wrxchg2st64_rtn_b64 v[5:8], v255, v[2:3], v[3:4] offset0:127 offset1:255
// CHECK: ds_wrxchg2st64_rtn_b64 v[5:8], v255, v[2:3], v[3:4] offset0:127 offset1:255 ; encoding: [0x7f,0xff,0xde,0xd8,0xff,0x02,0x03,0x05]

ds_wrxchg_rtn_b32 v255, v1, v2 offset:65535
// CHECK: ds_wrxchg_rtn_b32 v255, v1, v2 offset:65535 ; encoding: [0xff,0xff,0x5a,0xd8,0x01,0x02,0x00,0xff]

ds_wrxchg_rtn_b32 v5, v1, v2
// CHECK: ds_wrxchg_rtn_b32 v5, v1, v2            ; encoding: [0x00,0x00,0x5a,0xd8,0x01,0x02,0x00,0x05]

ds_wrxchg_rtn_b32 v5, v1, v2 offset:0
// CHECK: ds_wrxchg_rtn_b32 v5, v1, v2            ; encoding: [0x00,0x00,0x5a,0xd8,0x01,0x02,0x00,0x05]

ds_wrxchg_rtn_b32 v5, v1, v2 offset:4
// CHECK: ds_wrxchg_rtn_b32 v5, v1, v2 offset:4   ; encoding: [0x04,0x00,0x5a,0xd8,0x01,0x02,0x00,0x05]

ds_wrxchg_rtn_b32 v5, v1, v2 offset:65535
// CHECK: ds_wrxchg_rtn_b32 v5, v1, v2 offset:65535 ; encoding: [0xff,0xff,0x5a,0xd8,0x01,0x02,0x00,0x05]

ds_wrxchg_rtn_b32 v5, v1, v2 offset:65535 gds
// CHECK: ds_wrxchg_rtn_b32 v5, v1, v2 offset:65535 gds ; encoding: [0xff,0xff,0x5b,0xd8,0x01,0x02,0x00,0x05]

ds_wrxchg_rtn_b32 v5, v1, v255 offset:65535
// CHECK: ds_wrxchg_rtn_b32 v5, v1, v255 offset:65535 ; encoding: [0xff,0xff,0x5a,0xd8,0x01,0xff,0x00,0x05]

ds_wrxchg_rtn_b32 v5, v255, v2 offset:65535
// CHECK: ds_wrxchg_rtn_b32 v5, v255, v2 offset:65535 ; encoding: [0xff,0xff,0x5a,0xd8,0xff,0x02,0x00,0x05]

ds_wrxchg_rtn_b64 v[254:255], v1, v[2:3] offset:65535
// CHECK: ds_wrxchg_rtn_b64 v[254:255], v1, v[2:3] offset:65535 ; encoding: [0xff,0xff,0xda,0xd8,0x01,0x02,0x00,0xfe]

ds_wrxchg_rtn_b64 v[5:6], v1, v[254:255] offset:65535
// CHECK: ds_wrxchg_rtn_b64 v[5:6], v1, v[254:255] offset:65535 ; encoding: [0xff,0xff,0xda,0xd8,0x01,0xfe,0x00,0x05]

ds_wrxchg_rtn_b64 v[5:6], v1, v[2:3]
// CHECK: ds_wrxchg_rtn_b64 v[5:6], v1, v[2:3]    ; encoding: [0x00,0x00,0xda,0xd8,0x01,0x02,0x00,0x05]

ds_wrxchg_rtn_b64 v[5:6], v1, v[2:3] offset:0
// CHECK: ds_wrxchg_rtn_b64 v[5:6], v1, v[2:3]    ; encoding: [0x00,0x00,0xda,0xd8,0x01,0x02,0x00,0x05]

ds_wrxchg_rtn_b64 v[5:6], v1, v[2:3] offset:4
// CHECK: ds_wrxchg_rtn_b64 v[5:6], v1, v[2:3] offset:4 ; encoding: [0x04,0x00,0xda,0xd8,0x01,0x02,0x00,0x05]

ds_wrxchg_rtn_b64 v[5:6], v1, v[2:3] offset:65535
// CHECK: ds_wrxchg_rtn_b64 v[5:6], v1, v[2:3] offset:65535 ; encoding: [0xff,0xff,0xda,0xd8,0x01,0x02,0x00,0x05]

ds_wrxchg_rtn_b64 v[5:6], v1, v[2:3] offset:65535 gds
// CHECK: ds_wrxchg_rtn_b64 v[5:6], v1, v[2:3] offset:65535 gds ; encoding: [0xff,0xff,0xdb,0xd8,0x01,0x02,0x00,0x05]

ds_wrxchg_rtn_b64 v[5:6], v255, v[2:3] offset:65535
// CHECK: ds_wrxchg_rtn_b64 v[5:6], v255, v[2:3] offset:65535 ; encoding: [0xff,0xff,0xda,0xd8,0xff,0x02,0x00,0x05]

ds_xor_b32 v1, v2
// CHECK: ds_xor_b32 v1, v2                       ; encoding: [0x00,0x00,0x16,0xd8,0x01,0x02,0x00,0x00]

ds_xor_b32 v1, v2 offset:0
// CHECK: ds_xor_b32 v1, v2                       ; encoding: [0x00,0x00,0x16,0xd8,0x01,0x02,0x00,0x00]

ds_xor_b32 v1, v2 offset:4
// CHECK: ds_xor_b32 v1, v2 offset:4              ; encoding: [0x04,0x00,0x16,0xd8,0x01,0x02,0x00,0x00]

ds_xor_b32 v1, v2 offset:65535
// CHECK: ds_xor_b32 v1, v2 offset:65535          ; encoding: [0xff,0xff,0x16,0xd8,0x01,0x02,0x00,0x00]

ds_xor_b32 v1, v2 offset:65535 gds
// CHECK: ds_xor_b32 v1, v2 offset:65535 gds      ; encoding: [0xff,0xff,0x17,0xd8,0x01,0x02,0x00,0x00]

ds_xor_b32 v1, v255 offset:65535
// CHECK: ds_xor_b32 v1, v255 offset:65535        ; encoding: [0xff,0xff,0x16,0xd8,0x01,0xff,0x00,0x00]

ds_xor_b32 v255, v2 offset:65535
// CHECK: ds_xor_b32 v255, v2 offset:65535        ; encoding: [0xff,0xff,0x16,0xd8,0xff,0x02,0x00,0x00]

ds_xor_b64 v1, v[254:255] offset:65535
// CHECK: ds_xor_b64 v1, v[254:255] offset:65535  ; encoding: [0xff,0xff,0x96,0xd8,0x01,0xfe,0x00,0x00]

ds_xor_b64 v1, v[2:3]
// CHECK: ds_xor_b64 v1, v[2:3]                   ; encoding: [0x00,0x00,0x96,0xd8,0x01,0x02,0x00,0x00]

ds_xor_b64 v1, v[2:3] offset:0
// CHECK: ds_xor_b64 v1, v[2:3]                   ; encoding: [0x00,0x00,0x96,0xd8,0x01,0x02,0x00,0x00]

ds_xor_b64 v1, v[2:3] offset:4
// CHECK: ds_xor_b64 v1, v[2:3] offset:4          ; encoding: [0x04,0x00,0x96,0xd8,0x01,0x02,0x00,0x00]

ds_xor_b64 v1, v[2:3] offset:65535
// CHECK: ds_xor_b64 v1, v[2:3] offset:65535      ; encoding: [0xff,0xff,0x96,0xd8,0x01,0x02,0x00,0x00]

ds_xor_b64 v1, v[2:3] offset:65535 gds
// CHECK: ds_xor_b64 v1, v[2:3] offset:65535 gds  ; encoding: [0xff,0xff,0x97,0xd8,0x01,0x02,0x00,0x00]

ds_xor_b64 v255, v[2:3] offset:65535
// CHECK: ds_xor_b64 v255, v[2:3] offset:65535    ; encoding: [0xff,0xff,0x96,0xd8,0xff,0x02,0x00,0x00]

ds_xor_rtn_b32 v255, v1, v2 offset:65535
// CHECK: ds_xor_rtn_b32 v255, v1, v2 offset:65535 ; encoding: [0xff,0xff,0x56,0xd8,0x01,0x02,0x00,0xff]

ds_xor_rtn_b32 v5, v1, v2
// CHECK: ds_xor_rtn_b32 v5, v1, v2               ; encoding: [0x00,0x00,0x56,0xd8,0x01,0x02,0x00,0x05]

ds_xor_rtn_b32 v5, v1, v2 offset:0
// CHECK: ds_xor_rtn_b32 v5, v1, v2               ; encoding: [0x00,0x00,0x56,0xd8,0x01,0x02,0x00,0x05]

ds_xor_rtn_b32 v5, v1, v2 offset:4
// CHECK: ds_xor_rtn_b32 v5, v1, v2 offset:4      ; encoding: [0x04,0x00,0x56,0xd8,0x01,0x02,0x00,0x05]

ds_xor_rtn_b32 v5, v1, v2 offset:65535
// CHECK: ds_xor_rtn_b32 v5, v1, v2 offset:65535  ; encoding: [0xff,0xff,0x56,0xd8,0x01,0x02,0x00,0x05]

ds_xor_rtn_b32 v5, v1, v2 offset:65535 gds
// CHECK: ds_xor_rtn_b32 v5, v1, v2 offset:65535 gds ; encoding: [0xff,0xff,0x57,0xd8,0x01,0x02,0x00,0x05]

ds_xor_rtn_b32 v5, v1, v255 offset:65535
// CHECK: ds_xor_rtn_b32 v5, v1, v255 offset:65535 ; encoding: [0xff,0xff,0x56,0xd8,0x01,0xff,0x00,0x05]

ds_xor_rtn_b32 v5, v255, v2 offset:65535
// CHECK: ds_xor_rtn_b32 v5, v255, v2 offset:65535 ; encoding: [0xff,0xff,0x56,0xd8,0xff,0x02,0x00,0x05]

ds_xor_rtn_b64 v[254:255], v1, v[2:3] offset:65535
// CHECK: ds_xor_rtn_b64 v[254:255], v1, v[2:3] offset:65535 ; encoding: [0xff,0xff,0xd6,0xd8,0x01,0x02,0x00,0xfe]

ds_xor_rtn_b64 v[5:6], v1, v[254:255] offset:65535
// CHECK: ds_xor_rtn_b64 v[5:6], v1, v[254:255] offset:65535 ; encoding: [0xff,0xff,0xd6,0xd8,0x01,0xfe,0x00,0x05]

ds_xor_rtn_b64 v[5:6], v1, v[2:3]
// CHECK: ds_xor_rtn_b64 v[5:6], v1, v[2:3]       ; encoding: [0x00,0x00,0xd6,0xd8,0x01,0x02,0x00,0x05]

ds_xor_rtn_b64 v[5:6], v1, v[2:3] offset:0
// CHECK: ds_xor_rtn_b64 v[5:6], v1, v[2:3]       ; encoding: [0x00,0x00,0xd6,0xd8,0x01,0x02,0x00,0x05]

ds_xor_rtn_b64 v[5:6], v1, v[2:3] offset:4
// CHECK: ds_xor_rtn_b64 v[5:6], v1, v[2:3] offset:4 ; encoding: [0x04,0x00,0xd6,0xd8,0x01,0x02,0x00,0x05]

ds_xor_rtn_b64 v[5:6], v1, v[2:3] offset:65535
// CHECK: ds_xor_rtn_b64 v[5:6], v1, v[2:3] offset:65535 ; encoding: [0xff,0xff,0xd6,0xd8,0x01,0x02,0x00,0x05]

ds_xor_rtn_b64 v[5:6], v1, v[2:3] offset:65535 gds
// CHECK: ds_xor_rtn_b64 v[5:6], v1, v[2:3] offset:65535 gds ; encoding: [0xff,0xff,0xd7,0xd8,0x01,0x02,0x00,0x05]

ds_xor_rtn_b64 v[5:6], v255, v[2:3] offset:65535
// CHECK: ds_xor_rtn_b64 v[5:6], v255, v[2:3] offset:65535 ; encoding: [0xff,0xff,0xd6,0xd8,0xff,0x02,0x00,0x05]

ds_xor_src2_b32 v1
// CHECK: ds_xor_src2_b32 v1                      ; encoding: [0x00,0x00,0x16,0xd9,0x01,0x00,0x00,0x00]

ds_xor_src2_b32 v1 offset:0
// CHECK: ds_xor_src2_b32 v1                      ; encoding: [0x00,0x00,0x16,0xd9,0x01,0x00,0x00,0x00]

ds_xor_src2_b32 v1 offset:4
// CHECK: ds_xor_src2_b32 v1 offset:4             ; encoding: [0x04,0x00,0x16,0xd9,0x01,0x00,0x00,0x00]

ds_xor_src2_b32 v1 offset:65535
// CHECK: ds_xor_src2_b32 v1 offset:65535         ; encoding: [0xff,0xff,0x16,0xd9,0x01,0x00,0x00,0x00]

ds_xor_src2_b32 v1 offset:65535 gds
// CHECK: ds_xor_src2_b32 v1 offset:65535 gds     ; encoding: [0xff,0xff,0x17,0xd9,0x01,0x00,0x00,0x00]

ds_xor_src2_b32 v255 offset:65535
// CHECK: ds_xor_src2_b32 v255 offset:65535       ; encoding: [0xff,0xff,0x16,0xd9,0xff,0x00,0x00,0x00]

ds_xor_src2_b64 v1
// CHECK: ds_xor_src2_b64 v1                      ; encoding: [0x00,0x00,0x96,0xd9,0x01,0x00,0x00,0x00]

ds_xor_src2_b64 v1 offset:0
// CHECK: ds_xor_src2_b64 v1                      ; encoding: [0x00,0x00,0x96,0xd9,0x01,0x00,0x00,0x00]

ds_xor_src2_b64 v1 offset:4
// CHECK: ds_xor_src2_b64 v1 offset:4             ; encoding: [0x04,0x00,0x96,0xd9,0x01,0x00,0x00,0x00]

ds_xor_src2_b64 v1 offset:65535
// CHECK: ds_xor_src2_b64 v1 offset:65535         ; encoding: [0xff,0xff,0x96,0xd9,0x01,0x00,0x00,0x00]

ds_xor_src2_b64 v1 offset:65535 gds
// CHECK: ds_xor_src2_b64 v1 offset:65535 gds     ; encoding: [0xff,0xff,0x97,0xd9,0x01,0x00,0x00,0x00]

ds_xor_src2_b64 v255 offset:65535
// CHECK: ds_xor_src2_b64 v255 offset:65535       ; encoding: [0xff,0xff,0x96,0xd9,0xff,0x00,0x00,0x00]
